;; amdgpu-corpus repo=ROCm/rocFFT kind=compiled arch=gfx906 opt=O3
	.text
	.amdgcn_target "amdgcn-amd-amdhsa--gfx906"
	.amdhsa_code_object_version 6
	.protected	fft_rtc_back_len867_factors_17_17_3_wgs_51_tpt_51_halfLds_sp_op_CI_CI_unitstride_sbrr_dirReg ; -- Begin function fft_rtc_back_len867_factors_17_17_3_wgs_51_tpt_51_halfLds_sp_op_CI_CI_unitstride_sbrr_dirReg
	.globl	fft_rtc_back_len867_factors_17_17_3_wgs_51_tpt_51_halfLds_sp_op_CI_CI_unitstride_sbrr_dirReg
	.p2align	8
	.type	fft_rtc_back_len867_factors_17_17_3_wgs_51_tpt_51_halfLds_sp_op_CI_CI_unitstride_sbrr_dirReg,@function
fft_rtc_back_len867_factors_17_17_3_wgs_51_tpt_51_halfLds_sp_op_CI_CI_unitstride_sbrr_dirReg: ; @fft_rtc_back_len867_factors_17_17_3_wgs_51_tpt_51_halfLds_sp_op_CI_CI_unitstride_sbrr_dirReg
; %bb.0:
	s_load_dwordx4 s[12:15], s[4:5], 0x58
	s_load_dwordx4 s[8:11], s[4:5], 0x0
	;; [unrolled: 1-line block ×3, first 2 shown]
	v_mul_u32_u24_e32 v1, 0x506, v0
	v_mov_b32_e32 v5, 0
	v_mov_b32_e32 v31, 0
	s_waitcnt lgkmcnt(0)
	v_cmp_lt_u64_e64 s[0:1], s[10:11], 2
	v_add_u32_sdwa v7, s6, v1 dst_sel:DWORD dst_unused:UNUSED_PAD src0_sel:DWORD src1_sel:WORD_1
	v_mov_b32_e32 v8, v5
	s_and_b64 vcc, exec, s[0:1]
	v_mov_b32_e32 v32, 0
	s_cbranch_vccnz .LBB0_8
; %bb.1:
	s_load_dwordx2 s[0:1], s[4:5], 0x10
	s_add_u32 s2, s18, 8
	s_addc_u32 s3, s19, 0
	s_add_u32 s6, s16, 8
	s_addc_u32 s7, s17, 0
	v_mov_b32_e32 v31, 0
	s_waitcnt lgkmcnt(0)
	s_add_u32 s20, s0, 8
	v_mov_b32_e32 v32, 0
	v_mov_b32_e32 v1, v31
	s_addc_u32 s21, s1, 0
	s_mov_b64 s[22:23], 1
	v_mov_b32_e32 v2, v32
.LBB0_2:                                ; =>This Inner Loop Header: Depth=1
	s_load_dwordx2 s[24:25], s[20:21], 0x0
                                        ; implicit-def: $vgpr3_vgpr4
	s_waitcnt lgkmcnt(0)
	v_or_b32_e32 v6, s25, v8
	v_cmp_ne_u64_e32 vcc, 0, v[5:6]
	s_and_saveexec_b64 s[0:1], vcc
	s_xor_b64 s[26:27], exec, s[0:1]
	s_cbranch_execz .LBB0_4
; %bb.3:                                ;   in Loop: Header=BB0_2 Depth=1
	v_cvt_f32_u32_e32 v3, s24
	v_cvt_f32_u32_e32 v4, s25
	s_sub_u32 s0, 0, s24
	s_subb_u32 s1, 0, s25
	v_mac_f32_e32 v3, 0x4f800000, v4
	v_rcp_f32_e32 v3, v3
	v_mul_f32_e32 v3, 0x5f7ffffc, v3
	v_mul_f32_e32 v4, 0x2f800000, v3
	v_trunc_f32_e32 v4, v4
	v_mac_f32_e32 v3, 0xcf800000, v4
	v_cvt_u32_f32_e32 v4, v4
	v_cvt_u32_f32_e32 v3, v3
	v_mul_lo_u32 v6, s0, v4
	v_mul_hi_u32 v9, s0, v3
	v_mul_lo_u32 v11, s1, v3
	v_mul_lo_u32 v10, s0, v3
	v_add_u32_e32 v6, v9, v6
	v_add_u32_e32 v6, v6, v11
	v_mul_hi_u32 v9, v3, v10
	v_mul_lo_u32 v11, v3, v6
	v_mul_hi_u32 v13, v3, v6
	v_mul_hi_u32 v12, v4, v10
	v_mul_lo_u32 v10, v4, v10
	v_mul_hi_u32 v14, v4, v6
	v_add_co_u32_e32 v9, vcc, v9, v11
	v_addc_co_u32_e32 v11, vcc, 0, v13, vcc
	v_mul_lo_u32 v6, v4, v6
	v_add_co_u32_e32 v9, vcc, v9, v10
	v_addc_co_u32_e32 v9, vcc, v11, v12, vcc
	v_addc_co_u32_e32 v10, vcc, 0, v14, vcc
	v_add_co_u32_e32 v6, vcc, v9, v6
	v_addc_co_u32_e32 v9, vcc, 0, v10, vcc
	v_add_co_u32_e32 v3, vcc, v3, v6
	v_addc_co_u32_e32 v4, vcc, v4, v9, vcc
	v_mul_lo_u32 v6, s0, v4
	v_mul_hi_u32 v9, s0, v3
	v_mul_lo_u32 v10, s1, v3
	v_mul_lo_u32 v11, s0, v3
	v_add_u32_e32 v6, v9, v6
	v_add_u32_e32 v6, v6, v10
	v_mul_lo_u32 v12, v3, v6
	v_mul_hi_u32 v13, v3, v11
	v_mul_hi_u32 v14, v3, v6
	v_mul_hi_u32 v10, v4, v11
	v_mul_lo_u32 v11, v4, v11
	v_mul_hi_u32 v9, v4, v6
	v_add_co_u32_e32 v12, vcc, v13, v12
	v_addc_co_u32_e32 v13, vcc, 0, v14, vcc
	v_mul_lo_u32 v6, v4, v6
	v_add_co_u32_e32 v11, vcc, v12, v11
	v_addc_co_u32_e32 v10, vcc, v13, v10, vcc
	v_addc_co_u32_e32 v9, vcc, 0, v9, vcc
	v_add_co_u32_e32 v6, vcc, v10, v6
	v_addc_co_u32_e32 v9, vcc, 0, v9, vcc
	v_add_co_u32_e32 v6, vcc, v3, v6
	v_addc_co_u32_e32 v9, vcc, v4, v9, vcc
	v_mad_u64_u32 v[3:4], s[0:1], v7, v9, 0
	v_mul_hi_u32 v10, v7, v6
	v_add_co_u32_e32 v11, vcc, v10, v3
	v_addc_co_u32_e32 v12, vcc, 0, v4, vcc
	v_mad_u64_u32 v[3:4], s[0:1], v8, v6, 0
	v_mad_u64_u32 v[9:10], s[0:1], v8, v9, 0
	v_add_co_u32_e32 v3, vcc, v11, v3
	v_addc_co_u32_e32 v3, vcc, v12, v4, vcc
	v_addc_co_u32_e32 v4, vcc, 0, v10, vcc
	v_add_co_u32_e32 v6, vcc, v3, v9
	v_addc_co_u32_e32 v9, vcc, 0, v4, vcc
	v_mul_lo_u32 v10, s25, v6
	v_mul_lo_u32 v11, s24, v9
	v_mad_u64_u32 v[3:4], s[0:1], s24, v6, 0
	v_add3_u32 v4, v4, v11, v10
	v_sub_u32_e32 v10, v8, v4
	v_mov_b32_e32 v11, s25
	v_sub_co_u32_e32 v3, vcc, v7, v3
	v_subb_co_u32_e64 v10, s[0:1], v10, v11, vcc
	v_subrev_co_u32_e64 v11, s[0:1], s24, v3
	v_subbrev_co_u32_e64 v10, s[0:1], 0, v10, s[0:1]
	v_cmp_le_u32_e64 s[0:1], s25, v10
	v_cndmask_b32_e64 v12, 0, -1, s[0:1]
	v_cmp_le_u32_e64 s[0:1], s24, v11
	v_cndmask_b32_e64 v11, 0, -1, s[0:1]
	v_cmp_eq_u32_e64 s[0:1], s25, v10
	v_cndmask_b32_e64 v10, v12, v11, s[0:1]
	v_add_co_u32_e64 v11, s[0:1], 2, v6
	v_addc_co_u32_e64 v12, s[0:1], 0, v9, s[0:1]
	v_add_co_u32_e64 v13, s[0:1], 1, v6
	v_addc_co_u32_e64 v14, s[0:1], 0, v9, s[0:1]
	v_subb_co_u32_e32 v4, vcc, v8, v4, vcc
	v_cmp_ne_u32_e64 s[0:1], 0, v10
	v_cmp_le_u32_e32 vcc, s25, v4
	v_cndmask_b32_e64 v10, v14, v12, s[0:1]
	v_cndmask_b32_e64 v12, 0, -1, vcc
	v_cmp_le_u32_e32 vcc, s24, v3
	v_cndmask_b32_e64 v3, 0, -1, vcc
	v_cmp_eq_u32_e32 vcc, s25, v4
	v_cndmask_b32_e32 v3, v12, v3, vcc
	v_cmp_ne_u32_e32 vcc, 0, v3
	v_cndmask_b32_e64 v3, v13, v11, s[0:1]
	v_cndmask_b32_e32 v4, v9, v10, vcc
	v_cndmask_b32_e32 v3, v6, v3, vcc
.LBB0_4:                                ;   in Loop: Header=BB0_2 Depth=1
	s_andn2_saveexec_b64 s[0:1], s[26:27]
	s_cbranch_execz .LBB0_6
; %bb.5:                                ;   in Loop: Header=BB0_2 Depth=1
	v_cvt_f32_u32_e32 v3, s24
	s_sub_i32 s26, 0, s24
	v_rcp_iflag_f32_e32 v3, v3
	v_mul_f32_e32 v3, 0x4f7ffffe, v3
	v_cvt_u32_f32_e32 v3, v3
	v_mul_lo_u32 v4, s26, v3
	v_mul_hi_u32 v4, v3, v4
	v_add_u32_e32 v3, v3, v4
	v_mul_hi_u32 v3, v7, v3
	v_mul_lo_u32 v4, v3, s24
	v_add_u32_e32 v6, 1, v3
	v_sub_u32_e32 v4, v7, v4
	v_subrev_u32_e32 v9, s24, v4
	v_cmp_le_u32_e32 vcc, s24, v4
	v_cndmask_b32_e32 v4, v4, v9, vcc
	v_cndmask_b32_e32 v3, v3, v6, vcc
	v_add_u32_e32 v6, 1, v3
	v_cmp_le_u32_e32 vcc, s24, v4
	v_cndmask_b32_e32 v3, v3, v6, vcc
	v_mov_b32_e32 v4, v5
.LBB0_6:                                ;   in Loop: Header=BB0_2 Depth=1
	s_or_b64 exec, exec, s[0:1]
	v_mul_lo_u32 v6, v4, s24
	v_mul_lo_u32 v11, v3, s25
	v_mad_u64_u32 v[9:10], s[0:1], v3, s24, 0
	s_load_dwordx2 s[0:1], s[6:7], 0x0
	s_load_dwordx2 s[24:25], s[2:3], 0x0
	v_add3_u32 v6, v10, v11, v6
	v_sub_co_u32_e32 v7, vcc, v7, v9
	v_subb_co_u32_e32 v6, vcc, v8, v6, vcc
	s_waitcnt lgkmcnt(0)
	v_mul_lo_u32 v8, s0, v6
	v_mul_lo_u32 v9, s1, v7
	v_mad_u64_u32 v[31:32], s[0:1], s0, v7, v[31:32]
	v_mul_lo_u32 v6, s24, v6
	v_mul_lo_u32 v10, s25, v7
	v_mad_u64_u32 v[1:2], s[0:1], s24, v7, v[1:2]
	s_add_u32 s22, s22, 1
	s_addc_u32 s23, s23, 0
	s_add_u32 s2, s2, 8
	v_add3_u32 v2, v10, v2, v6
	s_addc_u32 s3, s3, 0
	v_mov_b32_e32 v6, s10
	s_add_u32 s6, s6, 8
	v_mov_b32_e32 v7, s11
	s_addc_u32 s7, s7, 0
	v_cmp_ge_u64_e32 vcc, s[22:23], v[6:7]
	s_add_u32 s20, s20, 8
	v_add3_u32 v32, v9, v32, v8
	s_addc_u32 s21, s21, 0
	s_cbranch_vccnz .LBB0_9
; %bb.7:                                ;   in Loop: Header=BB0_2 Depth=1
	v_mov_b32_e32 v8, v4
	v_mov_b32_e32 v7, v3
	s_branch .LBB0_2
.LBB0_8:
	v_mov_b32_e32 v1, v31
	v_mov_b32_e32 v3, v7
	;; [unrolled: 1-line block ×4, first 2 shown]
.LBB0_9:
	s_load_dwordx2 s[0:1], s[4:5], 0x28
	s_lshl_b64 s[6:7], s[10:11], 3
	s_add_u32 s2, s18, s6
	s_addc_u32 s3, s19, s7
                                        ; implicit-def: $sgpr10_sgpr11
                                        ; implicit-def: $vgpr40
	s_waitcnt lgkmcnt(0)
	v_cmp_gt_u64_e32 vcc, s[0:1], v[3:4]
	v_cmp_le_u64_e64 s[0:1], s[0:1], v[3:4]
	s_and_saveexec_b64 s[4:5], s[0:1]
	s_xor_b64 s[0:1], exec, s[4:5]
; %bb.10:
	s_mov_b32 s4, 0x5050506
	v_mul_hi_u32 v5, v0, s4
	s_mov_b64 s[10:11], 0
                                        ; implicit-def: $vgpr31_vgpr32
	v_mul_u32_u24_e32 v5, 51, v5
	v_sub_u32_e32 v40, v0, v5
                                        ; implicit-def: $vgpr0
; %bb.11:
	s_or_saveexec_b64 s[4:5], s[0:1]
	v_mov_b32_e32 v35, s11
	v_mov_b32_e32 v34, s10
                                        ; implicit-def: $vgpr37
                                        ; implicit-def: $vgpr30
                                        ; implicit-def: $vgpr26
                                        ; implicit-def: $vgpr22
                                        ; implicit-def: $vgpr18
                                        ; implicit-def: $vgpr14
                                        ; implicit-def: $vgpr10
                                        ; implicit-def: $vgpr6
                                        ; implicit-def: $vgpr39
                                        ; implicit-def: $vgpr33
                                        ; implicit-def: $vgpr28
                                        ; implicit-def: $vgpr24
                                        ; implicit-def: $vgpr20
                                        ; implicit-def: $vgpr16
                                        ; implicit-def: $vgpr12
                                        ; implicit-def: $vgpr8
	s_xor_b64 exec, exec, s[4:5]
	s_cbranch_execz .LBB0_13
; %bb.12:
	s_add_u32 s0, s16, s6
	s_addc_u32 s1, s17, s7
	s_load_dwordx2 s[0:1], s[0:1], 0x0
	s_mov_b32 s6, 0x5050506
	v_mul_hi_u32 v7, v0, s6
	s_waitcnt lgkmcnt(0)
	v_mul_lo_u32 v8, s1, v3
	v_mul_lo_u32 v9, s0, v4
	v_mad_u64_u32 v[5:6], s[0:1], s0, v3, 0
	v_mul_u32_u24_e32 v7, 51, v7
	v_sub_u32_e32 v40, v0, v7
	v_add3_u32 v6, v6, v9, v8
	v_lshlrev_b64 v[5:6], 3, v[5:6]
	v_mov_b32_e32 v0, s13
	v_add_co_u32_e64 v7, s[0:1], s12, v5
	v_addc_co_u32_e64 v0, s[0:1], v0, v6, s[0:1]
	v_lshlrev_b64 v[5:6], 3, v[31:32]
	v_add_co_u32_e64 v5, s[0:1], v7, v5
	v_addc_co_u32_e64 v0, s[0:1], v0, v6, s[0:1]
	v_lshlrev_b32_e32 v6, 3, v40
	v_add_co_u32_e64 v41, s[0:1], v5, v6
	v_addc_co_u32_e64 v42, s[0:1], 0, v0, s[0:1]
	s_movk_i32 s0, 0x1000
	v_add_co_u32_e64 v43, s[0:1], s0, v41
	global_load_dwordx2 v[34:35], v[41:42], off
	global_load_dwordx2 v[36:37], v[41:42], off offset:408
	global_load_dwordx2 v[29:30], v[41:42], off offset:816
	;; [unrolled: 1-line block ×7, first 2 shown]
	v_addc_co_u32_e64 v44, s[0:1], 0, v42, s[0:1]
	global_load_dwordx2 v[5:6], v[41:42], off offset:3264
	global_load_dwordx2 v[7:8], v[41:42], off offset:3672
	;; [unrolled: 1-line block ×9, first 2 shown]
.LBB0_13:
	s_or_b64 exec, exec, s[4:5]
	s_waitcnt vmcnt(15)
	v_add_f32_e32 v0, v36, v34
	v_add_f32_e32 v31, v37, v35
	s_waitcnt vmcnt(14)
	v_add_f32_e32 v0, v29, v0
	v_add_f32_e32 v31, v30, v31
	;; [unrolled: 3-line block ×15, first 2 shown]
	s_waitcnt vmcnt(0)
	v_add_f32_e32 v42, v37, v39
	v_sub_f32_e32 v37, v37, v39
	v_add_f32_e32 v31, v38, v0
	v_add_f32_e32 v0, v39, v41
	;; [unrolled: 1-line block ×3, first 2 shown]
	v_sub_f32_e32 v36, v36, v38
	v_mul_f32_e32 v38, 0xbeb8f4ab, v37
	v_mul_f32_e32 v45, 0xbf2c7751, v37
	;; [unrolled: 1-line block ×8, first 2 shown]
	s_mov_b32 s0, 0x3f6eb680
	v_mov_b32_e32 v39, v38
	s_mov_b32 s1, 0x3f3d2fb0
	v_mov_b32_e32 v46, v45
	;; [unrolled: 2-line block ×8, first 2 shown]
	v_fmac_f32_e32 v39, 0x3f6eb680, v41
	v_mul_f32_e32 v43, 0xbeb8f4ab, v36
	v_fma_f32 v38, v41, s0, -v38
	v_fmac_f32_e32 v46, 0x3f3d2fb0, v41
	v_mul_f32_e32 v47, 0xbf2c7751, v36
	v_fma_f32 v45, v41, s1, -v45
	;; [unrolled: 3-line block ×8, first 2 shown]
	v_add_f32_e32 v39, v39, v34
	v_fma_f32 v44, v42, s0, -v43
	v_add_f32_e32 v38, v38, v34
	v_fmac_f32_e32 v43, 0x3f6eb680, v42
	v_add_f32_e32 v46, v46, v34
	v_fma_f32 v48, v42, s1, -v47
	v_add_f32_e32 v45, v45, v34
	v_fmac_f32_e32 v47, 0x3f3d2fb0, v42
	v_add_f32_e32 v50, v50, v34
	v_fma_f32 v52, v42, s4, -v51
	v_add_f32_e32 v49, v49, v34
	v_fmac_f32_e32 v51, 0x3ee437d1, v42
	v_add_f32_e32 v54, v54, v34
	v_fma_f32 v56, v42, s5, -v55
	v_add_f32_e32 v53, v53, v34
	v_fmac_f32_e32 v55, 0x3dbcf732, v42
	v_add_f32_e32 v58, v58, v34
	v_fma_f32 v60, v42, s6, -v59
	v_add_f32_e32 v57, v57, v34
	v_fmac_f32_e32 v59, 0xbe8c1d8e, v42
	v_add_f32_e32 v62, v62, v34
	v_fma_f32 v64, v42, s7, -v63
	v_add_f32_e32 v61, v61, v34
	v_fmac_f32_e32 v63, 0xbf1a4643, v42
	v_add_f32_e32 v66, v66, v34
	v_fma_f32 v68, v42, s10, -v67
	v_add_f32_e32 v65, v65, v34
	v_fmac_f32_e32 v67, 0xbf59a7d5, v42
	v_add_f32_e32 v69, v69, v34
	v_fma_f32 v70, v42, s11, -v36
	v_add_f32_e32 v34, v37, v34
	v_fmac_f32_e32 v36, 0xbf7ba420, v42
	v_add_f32_e32 v37, v30, v33
	v_sub_f32_e32 v30, v30, v33
	v_add_f32_e32 v44, v44, v35
	v_add_f32_e32 v43, v43, v35
	;; [unrolled: 1-line block ×17, first 2 shown]
	v_sub_f32_e32 v29, v29, v32
	v_mul_f32_e32 v32, 0xbf2c7751, v30
	v_mov_b32_e32 v33, v32
	v_fmac_f32_e32 v33, 0x3f3d2fb0, v36
	v_add_f32_e32 v33, v33, v39
	v_mul_f32_e32 v39, 0xbf2c7751, v29
	v_fma_f32 v41, v37, s1, -v39
	v_fma_f32 v32, v36, s1, -v32
	v_fmac_f32_e32 v39, 0x3f3d2fb0, v37
	v_add_f32_e32 v32, v32, v38
	v_add_f32_e32 v38, v39, v43
	v_mul_f32_e32 v39, 0xbf7ee86f, v30
	v_mov_b32_e32 v42, v39
	v_fma_f32 v39, v36, s5, -v39
	v_fmac_f32_e32 v42, 0x3dbcf732, v36
	v_mul_f32_e32 v43, 0xbf7ee86f, v29
	v_add_f32_e32 v39, v39, v45
	v_mul_f32_e32 v45, 0xbf4c4adb, v30
	v_add_f32_e32 v41, v41, v44
	v_add_f32_e32 v42, v42, v46
	v_fma_f32 v44, v37, s5, -v43
	v_fmac_f32_e32 v43, 0x3dbcf732, v37
	v_mov_b32_e32 v46, v45
	v_fma_f32 v45, v36, s7, -v45
	v_add_f32_e32 v43, v43, v47
	v_fmac_f32_e32 v46, 0xbf1a4643, v36
	v_mul_f32_e32 v47, 0xbf4c4adb, v29
	v_add_f32_e32 v45, v45, v49
	v_mul_f32_e32 v49, 0xbe3c28d5, v30
	v_add_f32_e32 v44, v44, v48
	v_add_f32_e32 v46, v46, v50
	v_fma_f32 v48, v37, s7, -v47
	v_fmac_f32_e32 v47, 0xbf1a4643, v37
	v_mov_b32_e32 v50, v49
	v_fma_f32 v49, v36, s11, -v49
	v_add_f32_e32 v47, v47, v51
	;; [unrolled: 11-line block ×4, first 2 shown]
	v_fmac_f32_e32 v58, 0xbe8c1d8e, v36
	v_mul_f32_e32 v59, 0x3f763a35, v29
	v_add_f32_e32 v57, v57, v61
	v_mul_f32_e32 v61, 0x3f65296c, v30
	v_add_f32_e32 v56, v56, v60
	v_add_f32_e32 v58, v58, v62
	v_fma_f32 v60, v37, s6, -v59
	v_fmac_f32_e32 v59, 0xbe8c1d8e, v37
	v_mov_b32_e32 v62, v61
	v_add_f32_e32 v59, v59, v63
	v_fmac_f32_e32 v62, 0x3ee437d1, v36
	v_mul_f32_e32 v63, 0x3f65296c, v29
	v_mul_f32_e32 v29, 0x3eb8f4ab, v29
	v_add_f32_e32 v62, v62, v66
	v_fma_f32 v61, v36, s4, -v61
	v_mul_f32_e32 v30, 0x3eb8f4ab, v30
	v_fma_f32 v66, v37, s0, -v29
	v_fmac_f32_e32 v29, 0x3f6eb680, v37
	v_add_f32_e32 v61, v61, v65
	v_mov_b32_e32 v65, v30
	v_fma_f32 v30, v36, s0, -v30
	v_add_f32_e32 v29, v29, v35
	v_add_f32_e32 v35, v26, v28
	v_sub_f32_e32 v26, v26, v28
	v_add_f32_e32 v30, v30, v34
	v_add_f32_e32 v34, v25, v27
	v_sub_f32_e32 v25, v25, v27
	v_mul_f32_e32 v27, 0xbf65296c, v26
	v_mov_b32_e32 v28, v27
	v_fma_f32 v27, v34, s4, -v27
	v_fmac_f32_e32 v28, 0x3ee437d1, v34
	v_add_f32_e32 v32, v27, v32
	v_mul_f32_e32 v27, 0xbf4c4adb, v26
	v_add_f32_e32 v60, v60, v64
	v_fma_f32 v64, v37, s4, -v63
	v_fmac_f32_e32 v63, 0x3ee437d1, v37
	v_add_f32_e32 v28, v28, v33
	v_mul_f32_e32 v33, 0xbf65296c, v25
	v_mov_b32_e32 v37, v27
	v_fma_f32 v27, v34, s7, -v27
	v_fmac_f32_e32 v65, 0x3f6eb680, v36
	v_fma_f32 v36, v35, s4, -v33
	v_fmac_f32_e32 v33, 0x3ee437d1, v35
	v_fmac_f32_e32 v37, 0xbf1a4643, v34
	v_add_f32_e32 v39, v27, v39
	v_mul_f32_e32 v27, 0x3e3c28d5, v26
	v_add_f32_e32 v33, v33, v38
	v_add_f32_e32 v37, v37, v42
	v_mul_f32_e32 v38, 0xbf4c4adb, v25
	v_mov_b32_e32 v42, v27
	v_fma_f32 v27, v34, s11, -v27
	v_add_f32_e32 v36, v36, v41
	v_fma_f32 v41, v35, s7, -v38
	v_fmac_f32_e32 v38, 0xbf1a4643, v35
	v_fmac_f32_e32 v42, 0xbf7ba420, v34
	v_add_f32_e32 v45, v27, v45
	v_mul_f32_e32 v27, 0x3f763a35, v26
	v_add_f32_e32 v38, v38, v43
	v_add_f32_e32 v42, v42, v46
	v_mul_f32_e32 v43, 0x3e3c28d5, v25
	v_mov_b32_e32 v46, v27
	v_fma_f32 v27, v34, s6, -v27
	v_add_f32_e32 v41, v41, v44
	;; [unrolled: 11-line block ×4, first 2 shown]
	v_fma_f32 v52, v35, s1, -v51
	v_fmac_f32_e32 v51, 0x3f3d2fb0, v35
	v_fmac_f32_e32 v54, 0x3f6eb680, v34
	v_add_f32_e32 v57, v27, v57
	v_mul_f32_e32 v27, 0xbf7ee86f, v26
	v_add_f32_e32 v51, v51, v55
	v_add_f32_e32 v54, v54, v58
	v_mul_f32_e32 v55, 0xbeb8f4ab, v25
	v_mov_b32_e32 v58, v27
	v_fma_f32 v27, v34, s5, -v27
	v_mul_f32_e32 v26, 0xbf06c442, v26
	v_add_f32_e32 v52, v52, v56
	v_fma_f32 v56, v35, s0, -v55
	v_fmac_f32_e32 v55, 0x3f6eb680, v35
	v_add_f32_e32 v61, v27, v61
	v_mov_b32_e32 v27, v26
	v_add_f32_e32 v65, v65, v69
	v_add_f32_e32 v55, v55, v59
	v_fmac_f32_e32 v58, 0x3dbcf732, v34
	v_mul_f32_e32 v59, 0xbf7ee86f, v25
	v_fmac_f32_e32 v27, 0xbf59a7d5, v34
	v_mul_f32_e32 v25, 0xbf06c442, v25
	v_add_f32_e32 v64, v64, v68
	v_add_f32_e32 v63, v63, v67
	;; [unrolled: 1-line block ×5, first 2 shown]
	v_fma_f32 v60, v35, s5, -v59
	v_fmac_f32_e32 v59, 0x3dbcf732, v35
	v_add_f32_e32 v62, v27, v65
	v_fma_f32 v27, v35, s10, -v25
	v_fmac_f32_e32 v25, 0xbf59a7d5, v35
	v_add_f32_e32 v60, v60, v64
	v_add_f32_e32 v59, v59, v63
	v_add_f32_e32 v63, v27, v66
	v_add_f32_e32 v64, v25, v29
	v_add_f32_e32 v25, v21, v23
	v_sub_f32_e32 v66, v21, v23
	v_sub_f32_e32 v23, v22, v24
	v_mul_f32_e32 v21, 0xbf7ee86f, v23
	v_add_f32_e32 v65, v22, v24
	v_mov_b32_e32 v22, v21
	v_fmac_f32_e32 v22, 0x3dbcf732, v25
	v_add_f32_e32 v27, v22, v28
	v_mul_f32_e32 v22, 0xbf7ee86f, v66
	v_fma_f32 v21, v25, s5, -v21
	v_fma_f32 v26, v34, s10, -v26
	;; [unrolled: 1-line block ×3, first 2 shown]
	v_add_f32_e32 v29, v21, v32
	v_fmac_f32_e32 v22, 0x3dbcf732, v65
	v_mul_f32_e32 v21, 0xbe3c28d5, v23
	v_add_f32_e32 v26, v26, v30
	v_add_f32_e32 v30, v22, v33
	v_mov_b32_e32 v22, v21
	v_fmac_f32_e32 v22, 0xbf7ba420, v25
	v_add_f32_e32 v32, v22, v37
	v_mul_f32_e32 v22, 0xbe3c28d5, v66
	v_fma_f32 v21, v25, s11, -v21
	v_add_f32_e32 v28, v24, v36
	v_fma_f32 v24, v65, s11, -v22
	v_add_f32_e32 v34, v21, v39
	v_fmac_f32_e32 v22, 0xbf7ba420, v65
	v_mul_f32_e32 v21, 0x3f763a35, v23
	v_add_f32_e32 v35, v22, v38
	v_mov_b32_e32 v22, v21
	v_fmac_f32_e32 v22, 0xbe8c1d8e, v25
	v_add_f32_e32 v36, v22, v42
	v_mul_f32_e32 v22, 0x3f763a35, v66
	v_fma_f32 v21, v25, s6, -v21
	v_add_f32_e32 v33, v24, v41
	v_fma_f32 v24, v65, s6, -v22
	v_add_f32_e32 v38, v21, v45
	v_fmac_f32_e32 v22, 0xbe8c1d8e, v65
	v_mul_f32_e32 v21, 0x3eb8f4ab, v23
	;; [unrolled: 11-line block ×5, first 2 shown]
	v_add_f32_e32 v52, v22, v55
	v_mov_b32_e32 v22, v21
	v_fmac_f32_e32 v22, 0xbf1a4643, v25
	v_add_f32_e32 v53, v22, v58
	v_mul_f32_e32 v22, 0x3f4c4adb, v66
	v_mul_f32_e32 v55, 0x3f2c7751, v23
	v_add_f32_e32 v50, v24, v56
	v_fma_f32 v24, v65, s7, -v22
	v_mov_b32_e32 v23, v55
	v_mul_f32_e32 v56, 0x3f2c7751, v66
	v_add_f32_e32 v54, v24, v60
	v_fma_f32 v21, v25, s7, -v21
	v_fmac_f32_e32 v23, 0x3f3d2fb0, v25
	v_fma_f32 v24, v65, s1, -v56
	v_fma_f32 v25, v25, s1, -v55
	v_fmac_f32_e32 v56, 0x3f3d2fb0, v65
	v_add_f32_e32 v25, v25, v26
	v_add_f32_e32 v26, v56, v64
	;; [unrolled: 1-line block ×3, first 2 shown]
	v_sub_f32_e32 v18, v18, v20
	v_add_f32_e32 v55, v17, v19
	v_sub_f32_e32 v17, v17, v19
	v_mul_f32_e32 v19, 0xbf763a35, v18
	v_mov_b32_e32 v20, v19
	v_fmac_f32_e32 v20, 0xbe8c1d8e, v55
	v_add_f32_e32 v20, v20, v27
	v_mul_f32_e32 v27, 0xbf763a35, v17
	v_fma_f32 v19, v55, s6, -v19
	v_fma_f32 v57, v56, s6, -v27
	v_add_f32_e32 v19, v19, v29
	v_fmac_f32_e32 v27, 0xbe8c1d8e, v56
	v_mul_f32_e32 v29, 0x3f06c442, v18
	v_add_f32_e32 v27, v27, v30
	v_mov_b32_e32 v30, v29
	v_fmac_f32_e32 v30, 0xbf59a7d5, v55
	v_add_f32_e32 v30, v30, v32
	v_mul_f32_e32 v32, 0x3f06c442, v17
	v_fma_f32 v29, v55, s10, -v29
	v_add_f32_e32 v28, v57, v28
	v_fma_f32 v57, v56, s10, -v32
	v_add_f32_e32 v29, v29, v34
	v_fmac_f32_e32 v32, 0xbf59a7d5, v56
	v_mul_f32_e32 v34, 0x3f2c7751, v18
	v_add_f32_e32 v32, v32, v35
	v_mov_b32_e32 v35, v34
	v_fmac_f32_e32 v35, 0x3f3d2fb0, v55
	v_add_f32_e32 v36, v35, v36
	v_mul_f32_e32 v35, 0x3f2c7751, v17
	v_add_f32_e32 v33, v57, v33
	v_fma_f32 v57, v56, s1, -v35
	v_fmac_f32_e32 v35, 0x3f3d2fb0, v56
	v_add_f32_e32 v37, v57, v37
	v_fma_f32 v34, v55, s1, -v34
	v_add_f32_e32 v57, v35, v39
	v_mul_f32_e32 v35, 0xbf65296c, v18
	v_add_f32_e32 v34, v34, v38
	v_mov_b32_e32 v38, v35
	v_fmac_f32_e32 v38, 0x3ee437d1, v55
	v_add_f32_e32 v58, v38, v41
	v_mul_f32_e32 v38, 0xbf65296c, v17
	v_fma_f32 v35, v55, s4, -v35
	v_fma_f32 v39, v56, s4, -v38
	v_add_f32_e32 v60, v35, v43
	v_fmac_f32_e32 v38, 0x3ee437d1, v56
	v_mul_f32_e32 v35, 0xbe3c28d5, v18
	v_add_f32_e32 v21, v21, v61
	v_add_f32_e32 v61, v38, v44
	v_mov_b32_e32 v38, v35
	v_fmac_f32_e32 v38, 0xbf7ba420, v55
	v_fmac_f32_e32 v22, 0xbf1a4643, v65
	v_add_f32_e32 v23, v23, v62
	v_add_f32_e32 v62, v38, v45
	v_mul_f32_e32 v38, 0xbe3c28d5, v17
	v_fma_f32 v35, v55, s11, -v35
	v_add_f32_e32 v22, v22, v59
	v_add_f32_e32 v59, v39, v42
	v_fma_f32 v39, v56, s11, -v38
	v_add_f32_e32 v47, v35, v47
	v_fmac_f32_e32 v38, 0xbf7ba420, v56
	v_mul_f32_e32 v35, 0x3f7ee86f, v18
	v_add_f32_e32 v48, v38, v48
	v_mov_b32_e32 v38, v35
	v_fmac_f32_e32 v38, 0x3dbcf732, v55
	v_add_f32_e32 v49, v38, v49
	v_mul_f32_e32 v38, 0x3f7ee86f, v17
	v_fma_f32 v35, v55, s5, -v35
	v_add_f32_e32 v24, v24, v63
	v_add_f32_e32 v63, v39, v46
	v_fma_f32 v39, v56, s5, -v38
	v_add_f32_e32 v51, v35, v51
	v_fmac_f32_e32 v38, 0x3dbcf732, v56
	v_mul_f32_e32 v35, 0xbeb8f4ab, v18
	v_add_f32_e32 v52, v38, v52
	v_mov_b32_e32 v38, v35
	v_fmac_f32_e32 v38, 0x3f6eb680, v55
	v_add_f32_e32 v53, v38, v53
	v_mul_f32_e32 v38, 0xbeb8f4ab, v17
	v_add_f32_e32 v50, v39, v50
	v_fma_f32 v39, v56, s0, -v38
	v_fmac_f32_e32 v38, 0x3f6eb680, v56
	v_mul_f32_e32 v18, 0xbf4c4adb, v18
	v_add_f32_e32 v64, v38, v22
	v_mov_b32_e32 v22, v18
	v_fmac_f32_e32 v22, 0xbf1a4643, v55
	v_mul_f32_e32 v17, 0xbf4c4adb, v17
	v_add_f32_e32 v65, v22, v23
	v_fma_f32 v22, v56, s7, -v17
	v_fmac_f32_e32 v17, 0xbf1a4643, v56
	v_add_f32_e32 v56, v17, v26
	v_add_f32_e32 v17, v13, v15
	v_sub_f32_e32 v13, v13, v15
	v_sub_f32_e32 v15, v14, v16
	v_add_f32_e32 v67, v14, v16
	v_mul_f32_e32 v14, 0xbf4c4adb, v15
	v_mov_b32_e32 v16, v14
	v_fmac_f32_e32 v16, 0xbf1a4643, v17
	v_fma_f32 v18, v55, s7, -v18
	v_add_f32_e32 v44, v16, v20
	v_mul_f32_e32 v16, 0xbf4c4adb, v13
	v_fma_f32 v14, v17, s7, -v14
	v_fma_f32 v35, v55, s0, -v35
	v_add_f32_e32 v55, v18, v25
	v_fma_f32 v18, v67, s7, -v16
	v_add_f32_e32 v46, v14, v19
	v_fmac_f32_e32 v16, 0xbf1a4643, v67
	v_mul_f32_e32 v14, 0x3f763a35, v15
	v_add_f32_e32 v54, v39, v54
	v_add_f32_e32 v39, v16, v27
	v_mov_b32_e32 v16, v14
	v_fmac_f32_e32 v16, 0xbe8c1d8e, v17
	v_add_f32_e32 v41, v16, v30
	v_mul_f32_e32 v16, 0x3f763a35, v13
	v_fma_f32 v14, v17, s6, -v14
	v_add_f32_e32 v45, v18, v28
	v_fma_f32 v18, v67, s6, -v16
	v_add_f32_e32 v43, v14, v29
	v_fmac_f32_e32 v16, 0xbe8c1d8e, v67
	v_mul_f32_e32 v14, 0xbeb8f4ab, v15
	v_add_f32_e32 v21, v35, v21
	v_add_f32_e32 v35, v16, v32
	v_mov_b32_e32 v16, v14
	v_fmac_f32_e32 v16, 0x3f6eb680, v17
	v_add_f32_e32 v36, v16, v36
	v_mul_f32_e32 v16, 0xbeb8f4ab, v13
	v_fma_f32 v14, v17, s0, -v14
	v_add_f32_e32 v42, v18, v33
	v_fma_f32 v18, v67, s0, -v16
	v_add_f32_e32 v38, v14, v34
	v_fmac_f32_e32 v16, 0x3f6eb680, v67
	v_mul_f32_e32 v14, 0xbf06c442, v15
	v_add_f32_e32 v30, v16, v57
	v_mov_b32_e32 v16, v14
	v_fmac_f32_e32 v16, 0xbf59a7d5, v17
	v_add_f32_e32 v32, v16, v58
	v_mul_f32_e32 v16, 0xbf06c442, v13
	v_fma_f32 v14, v17, s10, -v14
	v_add_f32_e32 v37, v18, v37
	v_fma_f32 v18, v67, s10, -v16
	v_add_f32_e32 v34, v14, v60
	v_fmac_f32_e32 v16, 0xbf59a7d5, v67
	v_mul_f32_e32 v14, 0x3f7ee86f, v15
	v_add_f32_e32 v26, v16, v61
	v_mov_b32_e32 v16, v14
	v_fmac_f32_e32 v16, 0x3dbcf732, v17
	v_add_f32_e32 v27, v16, v62
	v_mul_f32_e32 v16, 0x3f7ee86f, v13
	v_fma_f32 v14, v17, s5, -v14
	v_add_f32_e32 v33, v18, v59
	v_fma_f32 v18, v67, s5, -v16
	v_add_f32_e32 v29, v14, v47
	v_fmac_f32_e32 v16, 0x3dbcf732, v67
	v_mul_f32_e32 v14, 0xbf2c7751, v15
	v_add_f32_e32 v66, v22, v24
	v_add_f32_e32 v22, v16, v48
	v_mov_b32_e32 v16, v14
	v_fmac_f32_e32 v16, 0x3f3d2fb0, v17
	v_add_f32_e32 v23, v16, v49
	v_mul_f32_e32 v16, 0xbf2c7751, v13
	v_fma_f32 v14, v17, s1, -v14
	v_add_f32_e32 v28, v18, v63
	v_fma_f32 v18, v67, s1, -v16
	v_add_f32_e32 v25, v14, v51
	v_fmac_f32_e32 v16, 0x3f3d2fb0, v67
	v_mul_f32_e32 v14, 0xbe3c28d5, v15
	v_mul_f32_e32 v47, 0x3f65296c, v15
	v_add_f32_e32 v24, v18, v50
	v_add_f32_e32 v18, v16, v52
	v_mov_b32_e32 v16, v14
	v_mov_b32_e32 v15, v47
	v_fmac_f32_e32 v16, 0xbf7ba420, v17
	v_fma_f32 v14, v17, s11, -v14
	v_fmac_f32_e32 v15, 0x3ee437d1, v17
	v_fma_f32 v17, v17, s4, -v47
	v_add_f32_e32 v47, v10, v12
	v_sub_f32_e32 v10, v10, v12
	v_add_f32_e32 v48, v9, v11
	v_sub_f32_e32 v9, v9, v11
	v_mul_f32_e32 v11, 0xbf06c442, v10
	v_mov_b32_e32 v12, v11
	v_fmac_f32_e32 v12, 0xbf59a7d5, v48
	v_add_f32_e32 v12, v12, v44
	v_mul_f32_e32 v44, 0xbf06c442, v9
	v_fma_f32 v49, v47, s10, -v44
	v_fmac_f32_e32 v44, 0xbf59a7d5, v47
	v_fma_f32 v11, v48, s10, -v11
	v_add_f32_e32 v39, v44, v39
	v_mul_f32_e32 v44, 0x3f65296c, v10
	v_add_f32_e32 v11, v11, v46
	v_mov_b32_e32 v46, v44
	v_fmac_f32_e32 v46, 0x3ee437d1, v48
	v_add_f32_e32 v41, v46, v41
	v_mul_f32_e32 v46, 0x3f65296c, v9
	v_fma_f32 v44, v48, s4, -v44
	v_add_f32_e32 v45, v49, v45
	v_fma_f32 v49, v47, s4, -v46
	v_add_f32_e32 v43, v44, v43
	v_fmac_f32_e32 v46, 0x3ee437d1, v47
	v_mul_f32_e32 v44, 0xbf7ee86f, v10
	v_add_f32_e32 v35, v46, v35
	v_mov_b32_e32 v46, v44
	v_fmac_f32_e32 v46, 0x3dbcf732, v48
	v_add_f32_e32 v36, v46, v36
	v_mul_f32_e32 v46, 0xbf7ee86f, v9
	v_fma_f32 v44, v48, s5, -v44
	v_add_f32_e32 v42, v49, v42
	v_fma_f32 v49, v47, s5, -v46
	v_add_f32_e32 v38, v44, v38
	v_fmac_f32_e32 v46, 0x3dbcf732, v47
	;; [unrolled: 11-line block ×5, first 2 shown]
	v_mul_f32_e32 v44, 0x3f2c7751, v10
	v_add_f32_e32 v19, v16, v53
	v_mul_f32_e32 v16, 0xbe3c28d5, v13
	v_add_f32_e32 v21, v14, v21
	v_add_f32_e32 v18, v46, v18
	v_mov_b32_e32 v46, v44
	v_fma_f32 v44, v48, s1, -v44
	v_mul_f32_e32 v10, 0xbf763a35, v10
	v_fma_f32 v20, v67, s11, -v16
	v_fmac_f32_e32 v16, 0xbf7ba420, v67
	v_mul_f32_e32 v13, 0x3f65296c, v13
	v_fmac_f32_e32 v46, 0x3f3d2fb0, v48
	v_add_f32_e32 v21, v44, v21
	v_mov_b32_e32 v44, v10
	v_add_f32_e32 v14, v16, v64
	v_add_f32_e32 v15, v15, v65
	v_fma_f32 v16, v67, s4, -v13
	v_add_f32_e32 v17, v17, v55
	v_fmac_f32_e32 v13, 0x3ee437d1, v67
	v_add_f32_e32 v19, v46, v19
	v_mul_f32_e32 v46, 0x3f2c7751, v9
	v_fmac_f32_e32 v44, 0xbe8c1d8e, v48
	v_mul_f32_e32 v9, 0xbf763a35, v9
	v_fma_f32 v10, v48, s6, -v10
	v_add_f32_e32 v13, v13, v56
	v_add_f32_e32 v15, v44, v15
	v_fma_f32 v44, v47, s6, -v9
	v_add_f32_e32 v10, v10, v17
	v_fmac_f32_e32 v9, 0xbe8c1d8e, v47
	v_add_f32_e32 v17, v6, v8
	v_sub_f32_e32 v6, v6, v8
	v_add_f32_e32 v9, v9, v13
	v_add_f32_e32 v13, v5, v7
	v_sub_f32_e32 v5, v5, v7
	v_mul_f32_e32 v7, 0xbe3c28d5, v6
	v_mov_b32_e32 v8, v7
	v_fmac_f32_e32 v8, 0xbf7ba420, v13
	v_add_f32_e32 v16, v16, v66
	v_add_f32_e32 v8, v8, v12
	v_mul_f32_e32 v12, 0xbe3c28d5, v5
	v_add_f32_e32 v16, v44, v16
	v_fma_f32 v44, v17, s11, -v12
	v_fma_f32 v7, v13, s11, -v7
	v_fmac_f32_e32 v12, 0xbf7ba420, v17
	v_add_f32_e32 v7, v7, v11
	v_add_f32_e32 v11, v12, v39
	v_mul_f32_e32 v12, 0x3eb8f4ab, v6
	v_mov_b32_e32 v39, v12
	v_fmac_f32_e32 v39, 0x3f6eb680, v13
	v_add_f32_e32 v24, v49, v24
	v_fma_f32 v49, v47, s1, -v46
	v_fmac_f32_e32 v46, 0x3f3d2fb0, v47
	v_add_f32_e32 v39, v39, v41
	v_mul_f32_e32 v41, 0x3eb8f4ab, v5
	v_add_f32_e32 v14, v46, v14
	v_add_f32_e32 v46, v44, v45
	v_fma_f32 v44, v17, s0, -v41
	v_fma_f32 v12, v13, s0, -v12
	v_fmac_f32_e32 v41, 0x3f6eb680, v17
	v_add_f32_e32 v12, v12, v43
	v_add_f32_e32 v43, v41, v35
	v_mul_f32_e32 v35, 0xbf06c442, v6
	v_mov_b32_e32 v41, v35
	v_fmac_f32_e32 v41, 0xbf59a7d5, v13
	v_add_f32_e32 v36, v41, v36
	v_mul_f32_e32 v41, 0xbf06c442, v5
	v_add_f32_e32 v42, v44, v42
	v_fma_f32 v44, v17, s10, -v41
	v_fmac_f32_e32 v41, 0xbf59a7d5, v17
	v_fma_f32 v35, v13, s10, -v35
	v_add_f32_e32 v50, v41, v30
	v_mul_f32_e32 v30, 0x3f2c7751, v6
	v_add_f32_e32 v47, v44, v37
	v_add_f32_e32 v37, v35, v38
	v_mov_b32_e32 v35, v30
	v_fmac_f32_e32 v35, 0x3f3d2fb0, v13
	v_add_f32_e32 v32, v35, v32
	v_mul_f32_e32 v35, 0x3f2c7751, v5
	v_fma_f32 v38, v17, s1, -v35
	v_fma_f32 v30, v13, s1, -v30
	v_fmac_f32_e32 v35, 0x3f3d2fb0, v17
	v_add_f32_e32 v30, v30, v34
	v_add_f32_e32 v34, v35, v26
	v_mul_f32_e32 v26, 0xbf4c4adb, v6
	v_mov_b32_e32 v35, v26
	v_fmac_f32_e32 v35, 0xbf1a4643, v13
	v_add_f32_e32 v27, v35, v27
	v_mul_f32_e32 v35, 0xbf4c4adb, v5
	v_add_f32_e32 v33, v38, v33
	v_fma_f32 v38, v17, s7, -v35
	v_add_f32_e32 v51, v38, v28
	v_fma_f32 v26, v13, s7, -v26
	v_mul_f32_e32 v28, 0x3f65296c, v6
	v_add_f32_e32 v26, v26, v29
	v_mov_b32_e32 v29, v28
	v_fmac_f32_e32 v29, 0x3ee437d1, v13
	v_fmac_f32_e32 v35, 0xbf1a4643, v17
	v_add_f32_e32 v23, v29, v23
	v_mul_f32_e32 v29, 0x3f65296c, v5
	v_add_f32_e32 v22, v35, v22
	v_fma_f32 v35, v17, s4, -v29
	v_fmac_f32_e32 v29, 0x3ee437d1, v17
	v_fma_f32 v28, v13, s4, -v28
	v_add_f32_e32 v52, v29, v18
	v_mul_f32_e32 v18, 0xbf763a35, v6
	v_add_f32_e32 v25, v28, v25
	v_mov_b32_e32 v28, v18
	v_fmac_f32_e32 v28, 0xbe8c1d8e, v13
	v_add_f32_e32 v20, v20, v54
	v_add_f32_e32 v19, v28, v19
	v_mul_f32_e32 v28, 0xbf763a35, v5
	v_add_f32_e32 v20, v49, v20
	v_fma_f32 v29, v17, s6, -v28
	v_mul_f32_e32 v6, 0x3f7ee86f, v6
	v_add_f32_e32 v53, v29, v20
	v_mov_b32_e32 v20, v6
	s_movk_i32 s12, 0x44
	v_add_f32_e32 v24, v35, v24
	v_fma_f32 v18, v13, s6, -v18
	v_fmac_f32_e32 v20, 0x3dbcf732, v13
	v_fma_f32 v6, v13, s5, -v6
	v_mad_u32_u24 v35, v40, s12, 0
	s_load_dwordx2 s[2:3], s[2:3], 0x0
	v_add_f32_e32 v18, v18, v21
	v_add_f32_e32 v15, v20, v15
	v_mul_f32_e32 v5, 0x3f7ee86f, v5
	v_add_f32_e32 v6, v6, v10
	ds_write2_b32 v35, v31, v8 offset1:1
	ds_write2_b32 v35, v39, v36 offset0:2 offset1:3
	ds_write2_b32 v35, v32, v27 offset0:4 offset1:5
	;; [unrolled: 1-line block ×7, first 2 shown]
	ds_write_b32 v35, v7 offset:64
	v_lshlrev_b32_e32 v39, 6, v40
	v_fma_f32 v20, v17, s5, -v5
	v_sub_u32_e32 v41, v35, v39
	v_fmac_f32_e32 v28, 0xbe8c1d8e, v17
	v_add_f32_e32 v16, v20, v16
	v_fmac_f32_e32 v5, 0x3dbcf732, v17
	v_add_u32_e32 v20, 0x400, v41
	v_add_u32_e32 v7, 0x600, v41
	;; [unrolled: 1-line block ×3, first 2 shown]
	s_movk_i32 s12, 0xf1
	v_add_f32_e32 v14, v28, v14
	v_add_f32_e32 v5, v5, v9
	s_waitcnt lgkmcnt(0)
	; wave barrier
	s_waitcnt lgkmcnt(0)
	ds_read2_b32 v[72:73], v41 offset1:51
	ds_read2_b32 v[25:26], v41 offset0:102 offset1:153
	ds_read2_b32 v[27:28], v41 offset0:204 offset1:255
	ds_read2_b32 v[29:30], v20 offset0:50 offset1:101
	ds_read2_b32 v[37:38], v20 offset0:152 offset1:203
	ds_read2_b32 v[44:45], v7 offset0:126 offset1:177
	ds_read2_b32 v[48:49], v18 offset0:100 offset1:151
	ds_read2_b32 v[74:75], v18 offset0:202 offset1:253
	ds_read_b32 v19, v41 offset:3264
	s_waitcnt lgkmcnt(0)
	; wave barrier
	s_waitcnt lgkmcnt(0)
	ds_write2_b32 v35, v0, v46 offset1:1
	ds_write2_b32 v35, v42, v47 offset0:2 offset1:3
	ds_write2_b32 v35, v33, v51 offset0:4 offset1:5
	ds_write2_b32 v35, v24, v53 offset0:6 offset1:7
	ds_write2_b32 v35, v16, v5 offset0:8 offset1:9
	ds_write2_b32 v35, v14, v52 offset0:10 offset1:11
	ds_write2_b32 v35, v22, v34 offset0:12 offset1:13
	ds_write2_b32 v35, v50, v43 offset0:14 offset1:15
	ds_write_b32 v35, v11 offset:64
	v_mul_lo_u16_sdwa v0, v40, s12 dst_sel:DWORD dst_unused:UNUSED_PAD src0_sel:BYTE_0 src1_sel:DWORD
	v_lshrrev_b16_e32 v9, 12, v0
	v_mul_lo_u16_e32 v0, 17, v9
	v_sub_u16_e32 v8, v40, v0
	v_mov_b32_e32 v0, 7
	v_lshlrev_b32_sdwa v0, v0, v8 dst_sel:DWORD dst_unused:UNUSED_PAD src0_sel:DWORD src1_sel:BYTE_0
	s_waitcnt lgkmcnt(0)
	; wave barrier
	s_waitcnt lgkmcnt(0)
	global_load_dwordx4 v[10:13], v0, s[8:9]
	global_load_dwordx4 v[14:17], v0, s[8:9] offset:16
	global_load_dwordx4 v[21:24], v0, s[8:9] offset:32
	;; [unrolled: 1-line block ×7, first 2 shown]
	ds_read2_b32 v[5:6], v41 offset1:51
	ds_read2_b32 v[31:32], v41 offset0:102 offset1:153
	ds_read2_b32 v[76:77], v41 offset0:204 offset1:255
	;; [unrolled: 1-line block ×7, first 2 shown]
	ds_read_b32 v88, v41 offset:3264
	v_mul_u32_u24_e32 v9, 0x484, v9
	s_waitcnt lgkmcnt(0)
	; wave barrier
	s_waitcnt lgkmcnt(0)
	v_sub_u32_e32 v39, 0, v39
	s_waitcnt vmcnt(7)
	v_mul_f32_e32 v0, v73, v11
	v_fma_f32 v51, v6, v10, -v0
	v_mul_f32_e32 v0, v25, v13
	v_fma_f32 v47, v31, v12, -v0
	s_waitcnt vmcnt(6)
	v_mul_f32_e32 v0, v26, v15
	v_fma_f32 v43, v32, v14, -v0
	v_mul_f32_e32 v0, v27, v17
	v_mul_f32_e32 v50, v6, v11
	;; [unrolled: 1-line block ×3, first 2 shown]
	v_fma_f32 v36, v76, v16, -v0
	s_waitcnt vmcnt(5)
	v_mul_f32_e32 v31, v77, v22
	v_mul_f32_e32 v0, v28, v22
	s_waitcnt vmcnt(4)
	v_mul_f32_e32 v6, v37, v55
	v_fmac_f32_e32 v31, v28, v21
	v_fma_f32 v33, v77, v21, -v0
	v_mul_f32_e32 v28, v78, v24
	v_mul_f32_e32 v0, v29, v24
	v_fma_f32 v7, v80, v54, -v6
	s_waitcnt vmcnt(3)
	v_mul_f32_e32 v6, v38, v57
	v_mul_f32_e32 v34, v76, v17
	v_fmac_f32_e32 v28, v29, v23
	v_fma_f32 v29, v78, v23, -v0
	v_fma_f32 v23, v81, v56, -v6
	v_mul_f32_e32 v6, v44, v59
	v_fmac_f32_e32 v34, v27, v16
	v_fma_f32 v27, v82, v58, -v6
	s_waitcnt vmcnt(2)
	v_mul_f32_e32 v6, v45, v61
	v_mul_f32_e32 v42, v32, v15
	;; [unrolled: 1-line block ×4, first 2 shown]
	v_fma_f32 v32, v83, v60, -v6
	v_mul_f32_e32 v6, v48, v63
	v_fmac_f32_e32 v42, v26, v14
	v_fmac_f32_e32 v24, v30, v52
	v_mul_f32_e32 v0, v30, v53
	v_fmac_f32_e32 v22, v38, v56
	v_mul_f32_e32 v26, v82, v59
	v_mul_f32_e32 v30, v83, v61
	v_fma_f32 v38, v84, v62, -v6
	s_waitcnt vmcnt(1)
	v_mul_f32_e32 v6, v49, v65
	v_fmac_f32_e32 v26, v44, v58
	v_fmac_f32_e32 v30, v45, v60
	v_mul_f32_e32 v44, v85, v65
	v_fma_f32 v45, v85, v64, -v6
	v_mul_f32_e32 v6, v74, v67
	v_fmac_f32_e32 v44, v49, v64
	v_fma_f32 v49, v86, v66, -v6
	s_waitcnt vmcnt(0)
	v_mul_f32_e32 v6, v75, v69
	v_fmac_f32_e32 v50, v73, v10
	v_fma_f32 v53, v87, v68, -v6
	v_mul_f32_e32 v6, v19, v71
	v_fmac_f32_e32 v46, v25, v12
	v_fma_f32 v56, v88, v70, -v6
	v_add_f32_e32 v6, v72, v50
	v_add_f32_e32 v6, v6, v46
	;; [unrolled: 1-line block ×5, first 2 shown]
	v_fma_f32 v25, v79, v52, -v0
	v_mul_f32_e32 v0, v80, v55
	v_add_f32_e32 v6, v6, v28
	v_fmac_f32_e32 v0, v37, v54
	v_add_f32_e32 v6, v6, v24
	v_add_f32_e32 v6, v6, v0
	;; [unrolled: 1-line block ×3, first 2 shown]
	v_mul_f32_e32 v37, v84, v63
	v_add_f32_e32 v6, v6, v26
	v_fmac_f32_e32 v37, v48, v62
	v_add_f32_e32 v6, v6, v30
	v_mul_f32_e32 v48, v86, v67
	v_add_f32_e32 v6, v6, v37
	v_fmac_f32_e32 v48, v74, v66
	v_mul_f32_e32 v52, v87, v69
	v_add_f32_e32 v6, v6, v44
	v_fmac_f32_e32 v52, v75, v68
	v_mul_f32_e32 v55, v88, v71
	v_add_f32_e32 v6, v6, v48
	v_sub_f32_e32 v11, v51, v56
	v_fmac_f32_e32 v55, v19, v70
	v_add_f32_e32 v6, v6, v52
	v_mul_f32_e32 v12, 0xbeb8f4ab, v11
	v_mul_f32_e32 v14, 0xbf2c7751, v11
	;; [unrolled: 1-line block ×8, first 2 shown]
	v_add_f32_e32 v10, v6, v55
	v_add_f32_e32 v6, v50, v55
	v_mov_b32_e32 v13, v12
	v_mov_b32_e32 v15, v14
	;; [unrolled: 1-line block ×8, first 2 shown]
	v_sub_f32_e32 v63, v47, v53
	v_fmac_f32_e32 v13, 0x3f6eb680, v6
	v_fma_f32 v12, v6, s0, -v12
	v_fmac_f32_e32 v15, 0x3f3d2fb0, v6
	v_fma_f32 v14, v6, s1, -v14
	;; [unrolled: 2-line block ×8, first 2 shown]
	v_add_f32_e32 v11, v46, v52
	v_mul_f32_e32 v64, 0xbf2c7751, v63
	v_add_f32_e32 v12, v72, v12
	v_mov_b32_e32 v65, v64
	v_fma_f32 v64, v11, s1, -v64
	v_add_f32_e32 v13, v72, v13
	v_fmac_f32_e32 v65, 0x3f3d2fb0, v11
	v_add_f32_e32 v12, v64, v12
	v_mul_f32_e32 v64, 0xbf7ee86f, v63
	v_add_f32_e32 v14, v72, v14
	v_add_f32_e32 v13, v65, v13
	v_mov_b32_e32 v65, v64
	v_fma_f32 v64, v11, s5, -v64
	v_add_f32_e32 v15, v72, v15
	v_fmac_f32_e32 v65, 0x3dbcf732, v11
	v_add_f32_e32 v14, v64, v14
	v_mul_f32_e32 v64, 0xbf4c4adb, v63
	v_add_f32_e32 v16, v72, v16
	;; [unrolled: 8-line block ×6, first 2 shown]
	v_add_f32_e32 v59, v65, v59
	v_mov_b32_e32 v65, v64
	v_fma_f32 v64, v11, s4, -v64
	v_mul_f32_e32 v63, 0x3eb8f4ab, v63
	v_add_f32_e32 v60, v64, v60
	v_mov_b32_e32 v64, v63
	v_add_f32_e32 v62, v72, v62
	v_add_f32_e32 v6, v72, v6
	v_fmac_f32_e32 v65, 0x3ee437d1, v11
	v_fmac_f32_e32 v64, 0x3f6eb680, v11
	v_fma_f32 v11, v11, s0, -v63
	v_sub_f32_e32 v63, v43, v49
	v_add_f32_e32 v61, v72, v61
	v_add_f32_e32 v62, v64, v62
	;; [unrolled: 1-line block ×4, first 2 shown]
	v_mul_f32_e32 v64, 0xbf65296c, v63
	v_add_f32_e32 v61, v65, v61
	v_mov_b32_e32 v65, v64
	v_fma_f32 v64, v11, s4, -v64
	v_fmac_f32_e32 v65, 0x3ee437d1, v11
	v_add_f32_e32 v12, v64, v12
	v_mul_f32_e32 v64, 0xbf4c4adb, v63
	v_add_f32_e32 v13, v65, v13
	v_mov_b32_e32 v65, v64
	v_fma_f32 v64, v11, s7, -v64
	v_fmac_f32_e32 v65, 0xbf1a4643, v11
	v_add_f32_e32 v14, v64, v14
	v_mul_f32_e32 v64, 0x3e3c28d5, v63
	v_add_f32_e32 v15, v65, v15
	v_mov_b32_e32 v65, v64
	v_fma_f32 v64, v11, s11, -v64
	v_fmac_f32_e32 v65, 0xbf7ba420, v11
	v_add_f32_e32 v16, v64, v16
	v_mul_f32_e32 v64, 0x3f763a35, v63
	v_add_f32_e32 v17, v65, v17
	v_mov_b32_e32 v65, v64
	v_fma_f32 v64, v11, s6, -v64
	v_fmac_f32_e32 v65, 0xbe8c1d8e, v11
	v_add_f32_e32 v19, v64, v19
	v_mul_f32_e32 v64, 0x3f2c7751, v63
	v_add_f32_e32 v21, v65, v21
	v_mov_b32_e32 v65, v64
	v_fma_f32 v64, v11, s1, -v64
	v_fmac_f32_e32 v65, 0x3f3d2fb0, v11
	v_add_f32_e32 v54, v64, v54
	v_mul_f32_e32 v64, 0xbeb8f4ab, v63
	v_add_f32_e32 v57, v65, v57
	v_mov_b32_e32 v65, v64
	v_fma_f32 v64, v11, s0, -v64
	v_fmac_f32_e32 v65, 0x3f6eb680, v11
	v_add_f32_e32 v58, v64, v58
	v_mul_f32_e32 v64, 0xbf7ee86f, v63
	v_add_f32_e32 v59, v65, v59
	v_mov_b32_e32 v65, v64
	v_fma_f32 v64, v11, s5, -v64
	v_mul_f32_e32 v63, 0xbf06c442, v63
	v_add_f32_e32 v60, v64, v60
	v_mov_b32_e32 v64, v63
	v_fmac_f32_e32 v65, 0x3dbcf732, v11
	v_fmac_f32_e32 v64, 0xbf59a7d5, v11
	v_fma_f32 v11, v11, s10, -v63
	v_sub_f32_e32 v63, v36, v45
	v_add_f32_e32 v62, v64, v62
	v_add_f32_e32 v6, v11, v6
	v_add_f32_e32 v11, v34, v44
	v_mul_f32_e32 v64, 0xbf7ee86f, v63
	v_add_f32_e32 v61, v65, v61
	v_mov_b32_e32 v65, v64
	v_fma_f32 v64, v11, s5, -v64
	v_fmac_f32_e32 v65, 0x3dbcf732, v11
	v_add_f32_e32 v12, v64, v12
	v_mul_f32_e32 v64, 0xbe3c28d5, v63
	v_add_f32_e32 v13, v65, v13
	v_mov_b32_e32 v65, v64
	v_fma_f32 v64, v11, s11, -v64
	v_fmac_f32_e32 v65, 0xbf7ba420, v11
	v_add_f32_e32 v14, v64, v14
	v_mul_f32_e32 v64, 0x3f763a35, v63
	v_add_f32_e32 v15, v65, v15
	v_mov_b32_e32 v65, v64
	v_fma_f32 v64, v11, s6, -v64
	v_fmac_f32_e32 v65, 0xbe8c1d8e, v11
	v_add_f32_e32 v16, v64, v16
	v_mul_f32_e32 v64, 0x3eb8f4ab, v63
	v_add_f32_e32 v17, v65, v17
	v_mov_b32_e32 v65, v64
	v_fma_f32 v64, v11, s0, -v64
	v_fmac_f32_e32 v65, 0x3f6eb680, v11
	v_add_f32_e32 v19, v64, v19
	v_mul_f32_e32 v64, 0xbf65296c, v63
	v_add_f32_e32 v21, v65, v21
	v_mov_b32_e32 v65, v64
	v_fma_f32 v64, v11, s4, -v64
	v_fmac_f32_e32 v65, 0x3ee437d1, v11
	v_add_f32_e32 v54, v64, v54
	v_mul_f32_e32 v64, 0xbf06c442, v63
	v_add_f32_e32 v57, v65, v57
	v_mov_b32_e32 v65, v64
	v_fma_f32 v64, v11, s10, -v64
	v_fmac_f32_e32 v65, 0xbf59a7d5, v11
	v_add_f32_e32 v58, v64, v58
	v_mul_f32_e32 v64, 0x3f4c4adb, v63
	v_add_f32_e32 v59, v65, v59
	v_mov_b32_e32 v65, v64
	v_fma_f32 v64, v11, s7, -v64
	v_mul_f32_e32 v63, 0x3f2c7751, v63
	v_add_f32_e32 v60, v64, v60
	v_mov_b32_e32 v64, v63
	v_fmac_f32_e32 v65, 0xbf1a4643, v11
	v_fmac_f32_e32 v64, 0x3f3d2fb0, v11
	v_fma_f32 v11, v11, s1, -v63
	v_sub_f32_e32 v63, v33, v38
	v_add_f32_e32 v62, v64, v62
	v_add_f32_e32 v6, v11, v6
	v_add_f32_e32 v11, v31, v37
	;; [unrolled: 50-line block ×4, first 2 shown]
	v_mul_f32_e32 v64, 0xbf06c442, v63
	v_add_f32_e32 v61, v65, v61
	v_mov_b32_e32 v65, v64
	v_fma_f32 v64, v11, s10, -v64
	v_fmac_f32_e32 v65, 0xbf59a7d5, v11
	v_add_f32_e32 v12, v64, v12
	v_mul_f32_e32 v64, 0x3f65296c, v63
	v_add_f32_e32 v13, v65, v13
	v_mov_b32_e32 v65, v64
	v_fma_f32 v64, v11, s4, -v64
	v_fmac_f32_e32 v65, 0x3ee437d1, v11
	v_add_f32_e32 v14, v64, v14
	;; [unrolled: 6-line block ×6, first 2 shown]
	v_mul_f32_e32 v54, 0x3f2c7751, v63
	v_add_f32_e32 v59, v65, v59
	v_mov_b32_e32 v65, v54
	v_fma_f32 v54, v11, s1, -v54
	v_add_f32_e32 v60, v54, v60
	v_mul_f32_e32 v54, 0xbf763a35, v63
	v_mov_b32_e32 v63, v54
	v_fmac_f32_e32 v65, 0x3f3d2fb0, v11
	v_fmac_f32_e32 v63, 0xbe8c1d8e, v11
	v_fma_f32 v11, v11, s6, -v54
	v_sub_f32_e32 v66, v7, v23
	v_add_f32_e32 v61, v65, v61
	v_add_f32_e32 v62, v63, v62
	;; [unrolled: 1-line block ×4, first 2 shown]
	v_mul_f32_e32 v6, 0xbe3c28d5, v66
	v_mov_b32_e32 v11, v6
	v_fma_f32 v6, v65, s11, -v6
	v_fmac_f32_e32 v11, 0xbf7ba420, v65
	v_add_f32_e32 v54, v6, v12
	v_mul_f32_e32 v6, 0x3eb8f4ab, v66
	v_add_f32_e32 v67, v11, v13
	v_mov_b32_e32 v11, v6
	v_fmac_f32_e32 v11, 0x3f6eb680, v65
	v_add_f32_e32 v68, v11, v15
	v_mul_f32_e32 v11, 0xbf06c442, v66
	v_mov_b32_e32 v12, v11
	v_fmac_f32_e32 v12, 0xbf59a7d5, v65
	v_add_f32_e32 v69, v12, v17
	v_mul_f32_e32 v12, 0x3f2c7751, v66
	v_mov_b32_e32 v13, v12
	v_fmac_f32_e32 v13, 0x3f3d2fb0, v65
	v_fma_f32 v6, v65, s0, -v6
	v_add_f32_e32 v70, v13, v21
	v_mul_f32_e32 v13, 0xbf4c4adb, v66
	v_add_f32_e32 v6, v6, v14
	v_mov_b32_e32 v14, v13
	v_fmac_f32_e32 v14, 0xbf1a4643, v65
	v_add_f32_e32 v71, v14, v57
	v_mul_f32_e32 v14, 0x3f65296c, v66
	v_mov_b32_e32 v15, v14
	v_fma_f32 v12, v65, s1, -v12
	v_fmac_f32_e32 v15, 0x3ee437d1, v65
	v_fma_f32 v11, v65, s10, -v11
	v_add_f32_e32 v12, v12, v19
	v_add_f32_e32 v19, v15, v59
	v_mul_f32_e32 v15, 0xbf763a35, v66
	v_add_f32_e32 v11, v11, v16
	v_mov_b32_e32 v16, v15
	v_fmac_f32_e32 v16, 0xbe8c1d8e, v65
	v_mul_f32_e32 v17, 0x3f7ee86f, v66
	v_mov_b32_e32 v57, 2
	v_add_f32_e32 v21, v16, v61
	v_mov_b32_e32 v16, v17
	v_lshlrev_b32_sdwa v8, v57, v8 dst_sel:DWORD dst_unused:UNUSED_PAD src0_sel:DWORD src1_sel:BYTE_0
	v_fma_f32 v13, v65, s7, -v13
	v_fma_f32 v14, v65, s4, -v14
	;; [unrolled: 1-line block ×3, first 2 shown]
	v_fmac_f32_e32 v16, 0x3dbcf732, v65
	v_fma_f32 v17, v65, s5, -v17
	v_add3_u32 v57, 0, v9, v8
	v_add_f32_e32 v13, v13, v64
	v_add_f32_e32 v14, v14, v58
	;; [unrolled: 1-line block ×5, first 2 shown]
	ds_write2_b32 v57, v10, v67 offset1:17
	ds_write2_b32 v57, v68, v69 offset0:34 offset1:51
	ds_write2_b32 v57, v70, v71 offset0:68 offset1:85
	;; [unrolled: 1-line block ×7, first 2 shown]
	ds_write_b32 v57, v54 offset:1088
	v_add_u32_e32 v10, 0x200, v41
	s_waitcnt lgkmcnt(0)
	; wave barrier
	s_waitcnt lgkmcnt(0)
	ds_read2_b32 v[8:9], v41 offset1:51
	ds_read2_b32 v[12:13], v10 offset0:76 offset1:161
	ds_read2_b32 v[10:11], v18 offset0:66 offset1:117
	;; [unrolled: 1-line block ×6, first 2 shown]
	ds_read_b32 v41, v41 offset:3128
	v_cmp_gt_u32_e64 s[0:1], 34, v40
	v_add_u32_e32 v58, v35, v39
                                        ; implicit-def: $vgpr39
	s_and_saveexec_b64 s[4:5], s[0:1]
	s_cbranch_execz .LBB0_15
; %bb.14:
	ds_read_b32 v6, v58 offset:1020
	ds_read_b32 v54, v58 offset:2176
	ds_read_b32 v39, v58 offset:3332
.LBB0_15:
	s_or_b64 exec, exec, s[4:5]
	v_add_f32_e32 v35, v5, v51
	v_add_f32_e32 v35, v35, v47
	;; [unrolled: 1-line block ×16, first 2 shown]
	v_sub_f32_e32 v50, v50, v55
	v_mul_f32_e32 v55, 0x3f6eb680, v51
	v_mul_f32_e32 v59, 0x3f3d2fb0, v51
	;; [unrolled: 1-line block ×8, first 2 shown]
	v_add_f32_e32 v35, v35, v56
	v_mov_b32_e32 v56, v55
	v_mov_b32_e32 v60, v59
	;; [unrolled: 1-line block ×8, first 2 shown]
	v_add_f32_e32 v47, v47, v53
	v_fmac_f32_e32 v56, 0x3eb8f4ab, v50
	v_fmac_f32_e32 v55, 0xbeb8f4ab, v50
	;; [unrolled: 1-line block ×16, first 2 shown]
	v_sub_f32_e32 v46, v46, v52
	v_mul_f32_e32 v50, 0x3f3d2fb0, v47
	v_add_f32_e32 v56, v5, v56
	v_add_f32_e32 v55, v5, v55
	;; [unrolled: 1-line block ×16, first 2 shown]
	v_mov_b32_e32 v51, v50
	v_fmac_f32_e32 v50, 0xbf2c7751, v46
	v_mul_f32_e32 v52, 0x3dbcf732, v47
	v_fmac_f32_e32 v51, 0x3f2c7751, v46
	v_add_f32_e32 v50, v50, v55
	v_mov_b32_e32 v53, v52
	v_fmac_f32_e32 v52, 0xbf7ee86f, v46
	v_mul_f32_e32 v55, 0xbf1a4643, v47
	v_add_f32_e32 v51, v51, v56
	v_fmac_f32_e32 v53, 0x3f7ee86f, v46
	v_add_f32_e32 v52, v52, v59
	v_mov_b32_e32 v56, v55
	v_fmac_f32_e32 v55, 0xbf4c4adb, v46
	v_mul_f32_e32 v59, 0xbf7ba420, v47
	v_add_f32_e32 v53, v53, v60
	v_fmac_f32_e32 v56, 0x3f4c4adb, v46
	v_add_f32_e32 v55, v55, v61
	v_mov_b32_e32 v60, v59
	v_fmac_f32_e32 v59, 0xbe3c28d5, v46
	v_mul_f32_e32 v61, 0xbf59a7d5, v47
	v_add_f32_e32 v56, v56, v62
	v_fmac_f32_e32 v60, 0x3e3c28d5, v46
	v_add_f32_e32 v59, v59, v63
	v_mov_b32_e32 v62, v61
	v_fmac_f32_e32 v61, 0x3f06c442, v46
	v_mul_f32_e32 v63, 0xbe8c1d8e, v47
	v_add_f32_e32 v60, v60, v64
	v_fmac_f32_e32 v62, 0xbf06c442, v46
	v_add_f32_e32 v61, v61, v65
	v_mov_b32_e32 v64, v63
	v_fmac_f32_e32 v63, 0x3f763a35, v46
	v_mul_f32_e32 v65, 0x3ee437d1, v47
	v_mul_f32_e32 v47, 0x3f6eb680, v47
	v_add_f32_e32 v62, v62, v66
	v_add_f32_e32 v63, v63, v67
	v_mov_b32_e32 v66, v65
	v_mov_b32_e32 v67, v47
	v_add_f32_e32 v43, v43, v49
	v_fmac_f32_e32 v64, 0xbf763a35, v46
	v_fmac_f32_e32 v66, 0xbf65296c, v46
	v_fmac_f32_e32 v65, 0x3f65296c, v46
	v_fmac_f32_e32 v67, 0xbeb8f4ab, v46
	v_fmac_f32_e32 v47, 0x3eb8f4ab, v46
	v_sub_f32_e32 v42, v42, v48
	v_mul_f32_e32 v46, 0x3ee437d1, v43
	v_add_f32_e32 v5, v47, v5
	v_mov_b32_e32 v47, v46
	v_fmac_f32_e32 v46, 0xbf65296c, v42
	v_mul_f32_e32 v48, 0xbf1a4643, v43
	v_fmac_f32_e32 v47, 0x3f65296c, v42
	v_add_f32_e32 v46, v46, v50
	v_mov_b32_e32 v49, v48
	v_fmac_f32_e32 v48, 0xbf4c4adb, v42
	v_mul_f32_e32 v50, 0xbf7ba420, v43
	v_add_f32_e32 v47, v47, v51
	v_fmac_f32_e32 v49, 0x3f4c4adb, v42
	v_add_f32_e32 v48, v48, v52
	v_mov_b32_e32 v51, v50
	v_fmac_f32_e32 v50, 0x3e3c28d5, v42
	v_mul_f32_e32 v52, 0xbe8c1d8e, v43
	v_add_f32_e32 v49, v49, v53
	v_fmac_f32_e32 v51, 0xbe3c28d5, v42
	v_add_f32_e32 v50, v50, v55
	v_mov_b32_e32 v53, v52
	v_fmac_f32_e32 v52, 0x3f763a35, v42
	v_mul_f32_e32 v55, 0x3f3d2fb0, v43
	v_add_f32_e32 v51, v51, v56
	v_fmac_f32_e32 v53, 0xbf763a35, v42
	v_add_f32_e32 v52, v52, v59
	v_mov_b32_e32 v56, v55
	v_fmac_f32_e32 v55, 0x3f2c7751, v42
	v_mul_f32_e32 v59, 0x3f6eb680, v43
	v_add_f32_e32 v53, v53, v60
	v_fmac_f32_e32 v56, 0xbf2c7751, v42
	v_add_f32_e32 v55, v55, v61
	v_mov_b32_e32 v60, v59
	v_fmac_f32_e32 v59, 0xbeb8f4ab, v42
	v_mul_f32_e32 v61, 0x3dbcf732, v43
	v_mul_f32_e32 v43, 0xbf59a7d5, v43
	v_add_f32_e32 v56, v56, v62
	v_add_f32_e32 v59, v59, v63
	v_mov_b32_e32 v62, v61
	v_mov_b32_e32 v63, v43
	v_add_f32_e32 v36, v36, v45
	v_fmac_f32_e32 v60, 0x3eb8f4ab, v42
	v_fmac_f32_e32 v62, 0x3f7ee86f, v42
	v_fmac_f32_e32 v61, 0xbf7ee86f, v42
	v_fmac_f32_e32 v63, 0x3f06c442, v42
	v_fmac_f32_e32 v43, 0xbf06c442, v42
	v_sub_f32_e32 v34, v34, v44
	v_mul_f32_e32 v42, 0x3dbcf732, v36
	v_add_f32_e32 v5, v43, v5
	;; [unrolled: 46-line block ×3, first 2 shown]
	v_mov_b32_e32 v36, v34
	v_fmac_f32_e32 v34, 0xbf763a35, v31
	v_mul_f32_e32 v37, 0xbf59a7d5, v33
	v_fmac_f32_e32 v36, 0x3f763a35, v31
	v_add_f32_e32 v34, v34, v42
	v_mov_b32_e32 v38, v37
	v_fmac_f32_e32 v37, 0x3f06c442, v31
	v_mul_f32_e32 v42, 0x3f3d2fb0, v33
	v_add_f32_e32 v36, v36, v43
	v_fmac_f32_e32 v38, 0xbf06c442, v31
	v_add_f32_e32 v37, v37, v44
	v_mov_b32_e32 v43, v42
	v_fmac_f32_e32 v42, 0x3f2c7751, v31
	v_mul_f32_e32 v44, 0x3ee437d1, v33
	v_add_f32_e32 v38, v38, v45
	;; [unrolled: 6-line block ×4, first 2 shown]
	v_fmac_f32_e32 v47, 0x3e3c28d5, v31
	v_add_f32_e32 v46, v46, v50
	v_mov_b32_e32 v49, v48
	v_fmac_f32_e32 v48, 0x3f7ee86f, v31
	v_mul_f32_e32 v50, 0x3f6eb680, v33
	v_mul_f32_e32 v33, 0xbf1a4643, v33
	v_add_f32_e32 v29, v29, v32
	v_add_f32_e32 v47, v47, v51
	v_add_f32_e32 v48, v48, v52
	v_mov_b32_e32 v51, v50
	v_mov_b32_e32 v52, v33
	v_sub_f32_e32 v28, v28, v30
	v_mul_f32_e32 v30, 0xbf1a4643, v29
	v_fmac_f32_e32 v49, 0xbf7ee86f, v31
	v_fmac_f32_e32 v51, 0x3eb8f4ab, v31
	;; [unrolled: 1-line block ×5, first 2 shown]
	v_mov_b32_e32 v31, v30
	v_fmac_f32_e32 v30, 0xbf4c4adb, v28
	v_mul_f32_e32 v32, 0xbe8c1d8e, v29
	v_add_f32_e32 v5, v33, v5
	v_fmac_f32_e32 v31, 0x3f4c4adb, v28
	v_add_f32_e32 v30, v30, v34
	v_mov_b32_e32 v33, v32
	v_fmac_f32_e32 v32, 0x3f763a35, v28
	v_mul_f32_e32 v34, 0x3f6eb680, v29
	v_add_f32_e32 v31, v31, v36
	v_fmac_f32_e32 v33, 0xbf763a35, v28
	v_add_f32_e32 v32, v32, v37
	;; [unrolled: 6-line block ×5, first 2 shown]
	v_mov_b32_e32 v45, v44
	v_fmac_f32_e32 v44, 0xbf2c7751, v28
	v_mul_f32_e32 v46, 0xbf7ba420, v29
	v_mul_f32_e32 v29, 0x3ee437d1, v29
	v_add_f32_e32 v25, v25, v27
	v_add_f32_e32 v43, v43, v47
	v_add_f32_e32 v44, v44, v48
	v_mov_b32_e32 v47, v46
	v_mov_b32_e32 v48, v29
	v_sub_f32_e32 v24, v24, v26
	v_mul_f32_e32 v26, 0xbf59a7d5, v25
	v_fmac_f32_e32 v45, 0x3f2c7751, v28
	v_fmac_f32_e32 v47, 0x3e3c28d5, v28
	;; [unrolled: 1-line block ×5, first 2 shown]
	v_mov_b32_e32 v27, v26
	v_fmac_f32_e32 v26, 0xbf06c442, v24
	v_mul_f32_e32 v28, 0x3ee437d1, v25
	v_add_f32_e32 v5, v29, v5
	v_fmac_f32_e32 v27, 0x3f06c442, v24
	v_add_f32_e32 v26, v26, v30
	v_mov_b32_e32 v29, v28
	v_fmac_f32_e32 v28, 0x3f65296c, v24
	v_mul_f32_e32 v30, 0x3dbcf732, v25
	v_add_f32_e32 v27, v27, v31
	v_fmac_f32_e32 v29, 0xbf65296c, v24
	v_add_f32_e32 v28, v28, v32
	;; [unrolled: 6-line block ×5, first 2 shown]
	v_mov_b32_e32 v38, v37
	v_fmac_f32_e32 v37, 0xbe3c28d5, v24
	v_mul_f32_e32 v42, 0x3f3d2fb0, v25
	v_mul_f32_e32 v25, 0xbe8c1d8e, v25
	v_add_f32_e32 v36, v36, v43
	v_add_f32_e32 v37, v37, v44
	v_mov_b32_e32 v43, v42
	v_mov_b32_e32 v44, v25
	v_fmac_f32_e32 v25, 0xbf763a35, v24
	v_add_f32_e32 v23, v7, v23
	v_fmac_f32_e32 v38, 0x3e3c28d5, v24
	v_fmac_f32_e32 v43, 0xbf2c7751, v24
	;; [unrolled: 1-line block ×4, first 2 shown]
	v_add_f32_e32 v24, v25, v5
	v_mul_f32_e32 v5, 0xbf7ba420, v23
	v_sub_f32_e32 v0, v0, v22
	v_mov_b32_e32 v7, v5
	v_fmac_f32_e32 v7, 0x3e3c28d5, v0
	v_add_f32_e32 v22, v7, v27
	v_fmac_f32_e32 v5, 0xbe3c28d5, v0
	v_mul_f32_e32 v7, 0x3f6eb680, v23
	v_add_f32_e32 v5, v5, v26
	v_mov_b32_e32 v25, v7
	v_fmac_f32_e32 v7, 0x3eb8f4ab, v0
	v_mul_f32_e32 v26, 0xbf59a7d5, v23
	v_add_f32_e32 v64, v64, v68
	v_add_f32_e32 v66, v66, v70
	v_add_f32_e32 v65, v65, v69
	v_add_f32_e32 v67, v67, v71
	v_fmac_f32_e32 v25, 0xbeb8f4ab, v0
	v_add_f32_e32 v7, v7, v28
	v_mov_b32_e32 v27, v26
	v_fmac_f32_e32 v26, 0xbf06c442, v0
	v_mul_f32_e32 v28, 0x3f3d2fb0, v23
	v_add_f32_e32 v60, v60, v64
	v_add_f32_e32 v62, v62, v66
	v_add_f32_e32 v61, v61, v65
	v_add_f32_e32 v63, v63, v67
	v_add_f32_e32 v25, v25, v29
	v_fmac_f32_e32 v27, 0x3f06c442, v0
	v_add_f32_e32 v26, v26, v30
	v_mov_b32_e32 v29, v28
	v_fmac_f32_e32 v28, 0x3f2c7751, v0
	v_mul_f32_e32 v30, 0xbf1a4643, v23
	v_add_f32_e32 v53, v53, v60
	;; [unrolled: 10-line block ×3, first 2 shown]
	v_add_f32_e32 v51, v51, v56
	v_add_f32_e32 v50, v50, v55
	;; [unrolled: 1-line block ×4, first 2 shown]
	v_fmac_f32_e32 v31, 0x3f4c4adb, v0
	v_add_f32_e32 v30, v30, v34
	v_mov_b32_e32 v33, v32
	v_fmac_f32_e32 v32, 0x3f65296c, v0
	v_mul_f32_e32 v34, 0xbe8c1d8e, v23
	v_mul_f32_e32 v23, 0x3dbcf732, v23
	v_add_f32_e32 v45, v45, v49
	v_add_f32_e32 v47, v47, v51
	;; [unrolled: 1-line block ×6, first 2 shown]
	v_mov_b32_e32 v36, v34
	v_mov_b32_e32 v37, v23
	v_fmac_f32_e32 v23, 0x3f7ee86f, v0
	v_add_f32_e32 v38, v38, v45
	v_add_f32_e32 v43, v43, v47
	;; [unrolled: 1-line block ×4, first 2 shown]
	v_fmac_f32_e32 v33, 0xbf65296c, v0
	v_fmac_f32_e32 v36, 0x3f763a35, v0
	;; [unrolled: 1-line block ×4, first 2 shown]
	v_add_f32_e32 v0, v23, v24
	v_add_f32_e32 v33, v33, v38
	;; [unrolled: 1-line block ×5, first 2 shown]
	s_waitcnt lgkmcnt(0)
	; wave barrier
	s_waitcnt lgkmcnt(0)
	ds_write2_b32 v57, v35, v22 offset1:17
	ds_write2_b32 v57, v25, v27 offset0:34 offset1:51
	ds_write2_b32 v57, v29, v31 offset0:68 offset1:85
	;; [unrolled: 1-line block ×7, first 2 shown]
	ds_write_b32 v57, v5 offset:1088
	v_add_u32_e32 v0, 0x200, v58
	s_waitcnt lgkmcnt(0)
	; wave barrier
	s_waitcnt lgkmcnt(0)
	ds_read2_b32 v[28:29], v0 offset0:76 offset1:161
	v_add_u32_e32 v0, 0x800, v58
	v_add_u32_e32 v22, 0x400, v58
	ds_read2_b32 v[24:25], v58 offset1:51
	ds_read2_b32 v[26:27], v0 offset0:66 offset1:117
	ds_read2_b32 v[30:31], v22 offset0:84 offset1:135
	;; [unrolled: 1-line block ×5, first 2 shown]
	ds_read_b32 v0, v58 offset:3128
                                        ; implicit-def: $vgpr38
	s_and_saveexec_b64 s[4:5], s[0:1]
	s_cbranch_execz .LBB0_17
; %bb.16:
	ds_read_b32 v7, v58 offset:1020
	ds_read_b32 v5, v58 offset:2176
	ds_read_b32 v38, v58 offset:3332
.LBB0_17:
	s_or_b64 exec, exec, s[4:5]
	s_and_saveexec_b64 s[4:5], vcc
	s_cbranch_execz .LBB0_20
; %bb.18:
	v_lshlrev_b32_e32 v59, 1, v40
	v_add_u32_e32 v22, 0x198, v59
	v_mov_b32_e32 v23, 0
	v_lshlrev_b64 v[42:43], 3, v[22:23]
	v_add_u32_e32 v22, 0x132, v59
	v_mov_b32_e32 v61, s9
	v_add_co_u32_e32 v42, vcc, s8, v42
	v_lshlrev_b64 v[46:47], 3, v[22:23]
	v_addc_co_u32_e32 v43, vcc, v61, v43, vcc
	v_add_co_u32_e32 v46, vcc, s8, v46
	global_load_dwordx4 v[42:45], v[42:43], off offset:2176
	v_addc_co_u32_e32 v47, vcc, v61, v47, vcc
	global_load_dwordx4 v[46:49], v[46:47], off offset:2176
	v_add_u32_e32 v22, 0xcc, v59
	v_lshlrev_b64 v[50:51], 3, v[22:23]
	v_add_u32_e32 v22, 0x66, v59
	v_add_co_u32_e32 v50, vcc, s8, v50
	v_addc_co_u32_e32 v51, vcc, v61, v51, vcc
	global_load_dwordx4 v[50:53], v[50:51], off offset:2176
	v_lshlrev_b64 v[55:56], 3, v[22:23]
	v_mov_b32_e32 v60, v23
	v_add_co_u32_e32 v55, vcc, s8, v55
	v_addc_co_u32_e32 v56, vcc, v61, v56, vcc
	global_load_dwordx4 v[55:58], v[55:56], off offset:2176
	v_mul_lo_u32 v62, s3, v3
	v_mul_lo_u32 v63, s2, v4
	v_mad_u64_u32 v[3:4], s[2:3], s2, v3, 0
	v_lshlrev_b64 v[59:60], 3, v[59:60]
	s_mov_b32 s3, 0xe2c4a689
	v_add_co_u32_e32 v59, vcc, s8, v59
	v_addc_co_u32_e32 v60, vcc, v61, v60, vcc
	v_add3_u32 v4, v4, v63, v62
	global_load_dwordx4 v[59:62], v[59:60], off offset:2176
	v_lshlrev_b64 v[3:4], 3, v[3:4]
	s_movk_i32 s4, 0x1000
	v_add_co_u32_e32 v3, vcc, s14, v3
	s_movk_i32 s2, 0x121
	s_waitcnt vmcnt(4)
	v_mul_f32_e32 v22, v21, v43
	s_waitcnt lgkmcnt(1)
	v_mul_f32_e32 v43, v37, v43
	v_mul_f32_e32 v63, v41, v45
	s_waitcnt lgkmcnt(0)
	v_mul_f32_e32 v45, v0, v45
	v_fma_f32 v22, v37, v42, -v22
	v_fmac_f32_e32 v43, v21, v42
	s_waitcnt vmcnt(3)
	v_mul_f32_e32 v21, v20, v47
	v_mul_f32_e32 v37, v19, v49
	v_fma_f32 v0, v0, v44, -v63
	v_fmac_f32_e32 v45, v41, v44
	v_mul_f32_e32 v41, v36, v47
	v_mul_f32_e32 v47, v35, v49
	v_add_f32_e32 v44, v28, v22
	v_fma_f32 v21, v36, v46, -v21
	v_fma_f32 v37, v35, v48, -v37
	v_add_f32_e32 v42, v22, v0
	v_sub_f32_e32 v49, v43, v45
	v_add_f32_e32 v63, v43, v45
	v_sub_f32_e32 v22, v22, v0
	v_add_f32_e32 v43, v12, v43
	v_fmac_f32_e32 v41, v20, v46
	v_fmac_f32_e32 v47, v19, v48
	v_add_f32_e32 v36, v44, v0
	v_add_f32_e32 v0, v21, v37
	;; [unrolled: 1-line block ×4, first 2 shown]
	v_fma_f32 v44, -0.5, v0, v33
	v_fma_f32 v19, -0.5, v63, v12
	v_sub_f32_e32 v12, v41, v47
	v_add_f32_e32 v45, v17, v41
	v_fma_f32 v43, -0.5, v43, v17
	v_mov_b32_e32 v48, v44
	s_waitcnt vmcnt(2)
	v_mul_f32_e32 v64, v15, v51
	v_fma_f32 v20, -0.5, v42, v28
	v_add_f32_e32 v28, v33, v21
	v_sub_f32_e32 v21, v21, v37
	v_add_f32_e32 v45, v45, v47
	v_fmac_f32_e32 v44, 0x3f5db3d7, v12
	v_mov_b32_e32 v47, v43
	v_fmac_f32_e32 v48, 0xbf5db3d7, v12
	v_mul_f32_e32 v12, v18, v53
	v_fmac_f32_e32 v43, 0xbf5db3d7, v21
	v_fmac_f32_e32 v47, 0x3f5db3d7, v21
	v_fma_f32 v0, v31, v50, -v64
	v_fma_f32 v12, v34, v52, -v12
	v_mul_f32_e32 v21, v31, v51
	v_add_f32_e32 v17, v0, v12
	v_fmac_f32_e32 v21, v15, v50
	v_mul_f32_e32 v15, v34, v53
	v_mov_b32_e32 v41, v19
	v_fma_f32 v64, -0.5, v17, v32
	v_fmac_f32_e32 v15, v18, v52
	v_fmac_f32_e32 v19, 0xbf5db3d7, v22
	v_add_f32_e32 v46, v28, v37
	v_fmac_f32_e32 v41, 0x3f5db3d7, v22
	v_sub_f32_e32 v22, v21, v15
	v_mov_b32_e32 v18, v64
	v_sub_f32_e32 v28, v0, v12
	v_add_f32_e32 v0, v32, v0
	v_fmac_f32_e32 v18, 0xbf5db3d7, v22
	v_add_f32_e32 v17, v21, v15
	v_fmac_f32_e32 v64, 0x3f5db3d7, v22
	v_add_f32_e32 v32, v0, v12
	v_add_f32_e32 v0, v16, v21
	s_waitcnt vmcnt(1)
	v_mul_f32_e32 v21, v30, v56
	v_mul_f32_e32 v22, v27, v58
	v_add_f32_e32 v31, v0, v15
	v_mul_f32_e32 v0, v14, v56
	v_mul_f32_e32 v12, v11, v58
	v_fmac_f32_e32 v21, v14, v55
	v_fmac_f32_e32 v22, v11, v57
	v_fma_f32 v63, -0.5, v17, v16
	v_fma_f32 v0, v30, v55, -v0
	v_fma_f32 v16, v27, v57, -v12
	v_add_f32_e32 v11, v21, v22
	v_mov_b32_e32 v17, v63
	v_add_f32_e32 v12, v0, v16
	v_fma_f32 v11, -0.5, v11, v9
	v_fmac_f32_e32 v17, 0x3f5db3d7, v28
	v_fmac_f32_e32 v63, 0xbf5db3d7, v28
	v_fma_f32 v12, -0.5, v12, v25
	v_sub_f32_e32 v28, v0, v16
	v_mov_b32_e32 v14, v11
	v_add_f32_e32 v0, v25, v0
	v_sub_f32_e32 v27, v21, v22
	v_mov_b32_e32 v15, v12
	v_fmac_f32_e32 v14, 0x3f5db3d7, v28
	v_fmac_f32_e32 v11, 0xbf5db3d7, v28
	v_add_f32_e32 v28, v0, v16
	v_add_f32_e32 v0, v9, v21
	v_fmac_f32_e32 v15, 0xbf5db3d7, v27
	v_fmac_f32_e32 v12, 0x3f5db3d7, v27
	v_add_f32_e32 v27, v0, v22
	s_waitcnt vmcnt(0)
	v_mul_f32_e32 v0, v13, v60
	v_fma_f32 v0, v29, v59, -v0
	v_mul_f32_e32 v9, v10, v62
	v_mul_f32_e32 v29, v29, v60
	v_fma_f32 v16, v26, v61, -v9
	v_fmac_f32_e32 v29, v13, v59
	v_mul_f32_e32 v13, v26, v62
	v_add_f32_e32 v9, v0, v16
	v_fmac_f32_e32 v13, v10, v61
	v_fma_f32 v22, -0.5, v9, v24
	v_add_f32_e32 v9, v29, v13
	v_fma_f32 v21, -0.5, v9, v8
	v_sub_f32_e32 v26, v0, v16
	v_mov_b32_e32 v9, v21
	v_fmac_f32_e32 v9, 0x3f5db3d7, v26
	v_fmac_f32_e32 v21, 0xbf5db3d7, v26
	v_mul_hi_u32 v26, v40, s3
	v_sub_f32_e32 v25, v29, v13
	v_mov_b32_e32 v10, v22
	v_add_f32_e32 v0, v24, v0
	v_fmac_f32_e32 v10, 0xbf5db3d7, v25
	v_fmac_f32_e32 v22, 0x3f5db3d7, v25
	v_add_f32_e32 v25, v0, v16
	v_add_f32_e32 v0, v8, v29
	;; [unrolled: 1-line block ×3, first 2 shown]
	v_lshrrev_b32_e32 v0, 8, v26
	v_mul_u32_u24_e32 v0, 0x121, v0
	v_sub_u32_e32 v8, v40, v0
	v_mov_b32_e32 v0, s15
	v_addc_co_u32_e32 v4, vcc, v0, v4, vcc
	v_lshlrev_b64 v[0:1], 3, v[1:2]
	v_mov_b32_e32 v42, v20
	v_add_co_u32_e32 v2, vcc, v3, v0
	v_addc_co_u32_e32 v3, vcc, v4, v1, vcc
	v_lshlrev_b32_e32 v0, 3, v8
	v_add_u32_e32 v4, 51, v40
	v_add_co_u32_e32 v0, vcc, v2, v0
	v_mul_hi_u32 v8, v4, s3
	v_addc_co_u32_e32 v1, vcc, 0, v3, vcc
	global_store_dwordx2 v[0:1], v[24:25], off
	global_store_dwordx2 v[0:1], v[21:22], off offset:2312
	v_add_co_u32_e32 v0, vcc, s4, v0
	v_addc_co_u32_e32 v1, vcc, 0, v1, vcc
	global_store_dwordx2 v[0:1], v[9:10], off offset:528
	v_lshrrev_b32_e32 v0, 8, v8
	v_mul_u32_u24_e32 v1, 0x121, v0
	v_sub_u32_e32 v1, v4, v1
	s_movk_i32 s4, 0x363
	v_mad_u32_u24 v22, v0, s4, v1
	v_lshlrev_b64 v[0:1], 3, v[22:23]
	v_add_u32_e32 v4, 0x66, v40
	v_add_co_u32_e32 v0, vcc, v2, v0
	v_addc_co_u32_e32 v1, vcc, v3, v1, vcc
	global_store_dwordx2 v[0:1], v[27:28], off
	v_add_u32_e32 v0, 0x121, v22
	v_mov_b32_e32 v1, v23
	v_lshlrev_b64 v[0:1], 3, v[0:1]
	v_add_u32_e32 v22, 0x242, v22
	v_add_co_u32_e32 v0, vcc, v2, v0
	v_addc_co_u32_e32 v1, vcc, v3, v1, vcc
	global_store_dwordx2 v[0:1], v[11:12], off
	v_lshlrev_b64 v[0:1], 3, v[22:23]
	v_mul_hi_u32 v8, v4, s3
	v_add_co_u32_e32 v0, vcc, v2, v0
	v_addc_co_u32_e32 v1, vcc, v3, v1, vcc
	global_store_dwordx2 v[0:1], v[14:15], off
	v_lshrrev_b32_e32 v0, 8, v8
	v_mul_u32_u24_e32 v1, 0x121, v0
	v_sub_u32_e32 v1, v4, v1
	v_mad_u32_u24 v22, v0, s4, v1
	v_lshlrev_b64 v[0:1], 3, v[22:23]
	v_add_u32_e32 v4, 0x99, v40
	v_add_co_u32_e32 v0, vcc, v2, v0
	v_addc_co_u32_e32 v1, vcc, v3, v1, vcc
	global_store_dwordx2 v[0:1], v[31:32], off
	v_add_u32_e32 v0, 0x121, v22
	v_mov_b32_e32 v1, v23
	v_lshlrev_b64 v[0:1], 3, v[0:1]
	v_add_u32_e32 v22, 0x242, v22
	v_add_co_u32_e32 v0, vcc, v2, v0
	v_addc_co_u32_e32 v1, vcc, v3, v1, vcc
	global_store_dwordx2 v[0:1], v[63:64], off
	v_lshlrev_b64 v[0:1], 3, v[22:23]
	v_mul_hi_u32 v8, v4, s3
	v_add_co_u32_e32 v0, vcc, v2, v0
	v_addc_co_u32_e32 v1, vcc, v3, v1, vcc
	global_store_dwordx2 v[0:1], v[17:18], off
	v_lshrrev_b32_e32 v0, 8, v8
	v_mul_u32_u24_e32 v1, 0x121, v0
	v_sub_u32_e32 v1, v4, v1
	;; [unrolled: 21-line block ×3, first 2 shown]
	v_mad_u32_u24 v22, v0, s4, v1
	v_lshlrev_b64 v[0:1], 3, v[22:23]
	v_fmac_f32_e32 v20, 0x3f5db3d7, v49
	v_add_co_u32_e32 v0, vcc, v2, v0
	v_addc_co_u32_e32 v1, vcc, v3, v1, vcc
	global_store_dwordx2 v[0:1], v[35:36], off
	v_add_u32_e32 v0, 0x121, v22
	v_mov_b32_e32 v1, v23
	v_lshlrev_b64 v[0:1], 3, v[0:1]
	v_add_u32_e32 v22, 0x242, v22
	v_add_co_u32_e32 v0, vcc, v2, v0
	v_addc_co_u32_e32 v1, vcc, v3, v1, vcc
	global_store_dwordx2 v[0:1], v[19:20], off
	v_lshlrev_b64 v[0:1], 3, v[22:23]
	v_fmac_f32_e32 v42, 0xbf5db3d7, v49
	v_add_co_u32_e32 v0, vcc, v2, v0
	v_addc_co_u32_e32 v1, vcc, v3, v1, vcc
	global_store_dwordx2 v[0:1], v[41:42], off
	v_add_u32_e32 v0, 0xff, v40
	v_cmp_gt_u32_e32 vcc, s2, v0
	s_and_b64 exec, exec, vcc
	s_cbranch_execz .LBB0_20
; %bb.19:
	v_not_b32_e32 v1, 33
	v_mov_b32_e32 v4, 0xff
	v_cndmask_b32_e64 v1, v1, v4, s[0:1]
	v_add_lshl_u32 v22, v40, v1, 1
	v_lshlrev_b64 v[8:9], 3, v[22:23]
	v_mov_b32_e32 v1, s9
	v_add_co_u32_e32 v8, vcc, s8, v8
	v_addc_co_u32_e32 v9, vcc, v1, v9, vcc
	global_load_dwordx4 v[8:11], v[8:9], off offset:2176
	v_mov_b32_e32 v1, v23
	v_lshlrev_b64 v[0:1], 3, v[0:1]
	v_add_u32_e32 v22, 0x220, v40
	v_add_co_u32_e32 v0, vcc, v2, v0
	v_lshlrev_b64 v[12:13], 3, v[22:23]
	v_addc_co_u32_e32 v1, vcc, v3, v1, vcc
	v_add_u32_e32 v22, 0x341, v40
	v_lshlrev_b64 v[14:15], 3, v[22:23]
	v_add_co_u32_e32 v12, vcc, v2, v12
	v_addc_co_u32_e32 v13, vcc, v3, v13, vcc
	v_add_co_u32_e32 v2, vcc, v2, v14
	v_addc_co_u32_e32 v3, vcc, v3, v15, vcc
	s_waitcnt vmcnt(0)
	v_mul_f32_e32 v4, v5, v9
	v_mul_f32_e32 v9, v54, v9
	;; [unrolled: 1-line block ×4, first 2 shown]
	v_fmac_f32_e32 v4, v54, v8
	v_fma_f32 v5, v5, v8, -v9
	v_fmac_f32_e32 v14, v39, v10
	v_fma_f32 v8, v38, v10, -v11
	v_add_f32_e32 v10, v4, v14
	v_add_f32_e32 v16, v5, v8
	;; [unrolled: 1-line block ×4, first 2 shown]
	v_fmac_f32_e32 v6, -0.5, v10
	v_fmac_f32_e32 v7, -0.5, v16
	v_sub_f32_e32 v11, v5, v8
	v_sub_f32_e32 v17, v4, v14
	v_add_f32_e32 v4, v9, v14
	v_add_f32_e32 v5, v15, v8
	v_mov_b32_e32 v8, v6
	v_mov_b32_e32 v9, v7
	v_fmac_f32_e32 v8, 0xbf5db3d7, v11
	v_fmac_f32_e32 v9, 0x3f5db3d7, v17
	;; [unrolled: 1-line block ×4, first 2 shown]
	global_store_dwordx2 v[0:1], v[4:5], off
	global_store_dwordx2 v[12:13], v[8:9], off
	;; [unrolled: 1-line block ×3, first 2 shown]
.LBB0_20:
	s_endpgm
	.section	.rodata,"a",@progbits
	.p2align	6, 0x0
	.amdhsa_kernel fft_rtc_back_len867_factors_17_17_3_wgs_51_tpt_51_halfLds_sp_op_CI_CI_unitstride_sbrr_dirReg
		.amdhsa_group_segment_fixed_size 0
		.amdhsa_private_segment_fixed_size 0
		.amdhsa_kernarg_size 104
		.amdhsa_user_sgpr_count 6
		.amdhsa_user_sgpr_private_segment_buffer 1
		.amdhsa_user_sgpr_dispatch_ptr 0
		.amdhsa_user_sgpr_queue_ptr 0
		.amdhsa_user_sgpr_kernarg_segment_ptr 1
		.amdhsa_user_sgpr_dispatch_id 0
		.amdhsa_user_sgpr_flat_scratch_init 0
		.amdhsa_user_sgpr_private_segment_size 0
		.amdhsa_uses_dynamic_stack 0
		.amdhsa_system_sgpr_private_segment_wavefront_offset 0
		.amdhsa_system_sgpr_workgroup_id_x 1
		.amdhsa_system_sgpr_workgroup_id_y 0
		.amdhsa_system_sgpr_workgroup_id_z 0
		.amdhsa_system_sgpr_workgroup_info 0
		.amdhsa_system_vgpr_workitem_id 0
		.amdhsa_next_free_vgpr 89
		.amdhsa_next_free_sgpr 28
		.amdhsa_reserve_vcc 1
		.amdhsa_reserve_flat_scratch 0
		.amdhsa_float_round_mode_32 0
		.amdhsa_float_round_mode_16_64 0
		.amdhsa_float_denorm_mode_32 3
		.amdhsa_float_denorm_mode_16_64 3
		.amdhsa_dx10_clamp 1
		.amdhsa_ieee_mode 1
		.amdhsa_fp16_overflow 0
		.amdhsa_exception_fp_ieee_invalid_op 0
		.amdhsa_exception_fp_denorm_src 0
		.amdhsa_exception_fp_ieee_div_zero 0
		.amdhsa_exception_fp_ieee_overflow 0
		.amdhsa_exception_fp_ieee_underflow 0
		.amdhsa_exception_fp_ieee_inexact 0
		.amdhsa_exception_int_div_zero 0
	.end_amdhsa_kernel
	.text
.Lfunc_end0:
	.size	fft_rtc_back_len867_factors_17_17_3_wgs_51_tpt_51_halfLds_sp_op_CI_CI_unitstride_sbrr_dirReg, .Lfunc_end0-fft_rtc_back_len867_factors_17_17_3_wgs_51_tpt_51_halfLds_sp_op_CI_CI_unitstride_sbrr_dirReg
                                        ; -- End function
	.section	.AMDGPU.csdata,"",@progbits
; Kernel info:
; codeLenInByte = 14172
; NumSgprs: 32
; NumVgprs: 89
; ScratchSize: 0
; MemoryBound: 0
; FloatMode: 240
; IeeeMode: 1
; LDSByteSize: 0 bytes/workgroup (compile time only)
; SGPRBlocks: 3
; VGPRBlocks: 22
; NumSGPRsForWavesPerEU: 32
; NumVGPRsForWavesPerEU: 89
; Occupancy: 2
; WaveLimiterHint : 1
; COMPUTE_PGM_RSRC2:SCRATCH_EN: 0
; COMPUTE_PGM_RSRC2:USER_SGPR: 6
; COMPUTE_PGM_RSRC2:TRAP_HANDLER: 0
; COMPUTE_PGM_RSRC2:TGID_X_EN: 1
; COMPUTE_PGM_RSRC2:TGID_Y_EN: 0
; COMPUTE_PGM_RSRC2:TGID_Z_EN: 0
; COMPUTE_PGM_RSRC2:TIDIG_COMP_CNT: 0
	.type	__hip_cuid_3b300b9d712eddb,@object ; @__hip_cuid_3b300b9d712eddb
	.section	.bss,"aw",@nobits
	.globl	__hip_cuid_3b300b9d712eddb
__hip_cuid_3b300b9d712eddb:
	.byte	0                               ; 0x0
	.size	__hip_cuid_3b300b9d712eddb, 1

	.ident	"AMD clang version 19.0.0git (https://github.com/RadeonOpenCompute/llvm-project roc-6.4.0 25133 c7fe45cf4b819c5991fe208aaa96edf142730f1d)"
	.section	".note.GNU-stack","",@progbits
	.addrsig
	.addrsig_sym __hip_cuid_3b300b9d712eddb
	.amdgpu_metadata
---
amdhsa.kernels:
  - .args:
      - .actual_access:  read_only
        .address_space:  global
        .offset:         0
        .size:           8
        .value_kind:     global_buffer
      - .offset:         8
        .size:           8
        .value_kind:     by_value
      - .actual_access:  read_only
        .address_space:  global
        .offset:         16
        .size:           8
        .value_kind:     global_buffer
      - .actual_access:  read_only
        .address_space:  global
        .offset:         24
        .size:           8
        .value_kind:     global_buffer
      - .actual_access:  read_only
        .address_space:  global
        .offset:         32
        .size:           8
        .value_kind:     global_buffer
      - .offset:         40
        .size:           8
        .value_kind:     by_value
      - .actual_access:  read_only
        .address_space:  global
        .offset:         48
        .size:           8
        .value_kind:     global_buffer
      - .actual_access:  read_only
        .address_space:  global
        .offset:         56
        .size:           8
        .value_kind:     global_buffer
      - .offset:         64
        .size:           4
        .value_kind:     by_value
      - .actual_access:  read_only
        .address_space:  global
        .offset:         72
        .size:           8
        .value_kind:     global_buffer
      - .actual_access:  read_only
        .address_space:  global
        .offset:         80
        .size:           8
        .value_kind:     global_buffer
      - .actual_access:  read_only
        .address_space:  global
        .offset:         88
        .size:           8
        .value_kind:     global_buffer
      - .actual_access:  write_only
        .address_space:  global
        .offset:         96
        .size:           8
        .value_kind:     global_buffer
    .group_segment_fixed_size: 0
    .kernarg_segment_align: 8
    .kernarg_segment_size: 104
    .language:       OpenCL C
    .language_version:
      - 2
      - 0
    .max_flat_workgroup_size: 51
    .name:           fft_rtc_back_len867_factors_17_17_3_wgs_51_tpt_51_halfLds_sp_op_CI_CI_unitstride_sbrr_dirReg
    .private_segment_fixed_size: 0
    .sgpr_count:     32
    .sgpr_spill_count: 0
    .symbol:         fft_rtc_back_len867_factors_17_17_3_wgs_51_tpt_51_halfLds_sp_op_CI_CI_unitstride_sbrr_dirReg.kd
    .uniform_work_group_size: 1
    .uses_dynamic_stack: false
    .vgpr_count:     89
    .vgpr_spill_count: 0
    .wavefront_size: 64
amdhsa.target:   amdgcn-amd-amdhsa--gfx906
amdhsa.version:
  - 1
  - 2
...

	.end_amdgpu_metadata
